;; amdgpu-corpus repo=ROCm/rocSOLVER kind=compiled arch=gfx1201 opt=O3
	.amdgcn_target "amdgcn-amd-amdhsa--gfx1201"
	.amdhsa_code_object_version 6
	.section	.text._ZN9rocsolver6v33100L22larf_left_kernel_smallILi64EfiPfEEvT1_S3_T2_lS3_lPKT0_lS4_lS3_l,"axG",@progbits,_ZN9rocsolver6v33100L22larf_left_kernel_smallILi64EfiPfEEvT1_S3_T2_lS3_lPKT0_lS4_lS3_l,comdat
	.globl	_ZN9rocsolver6v33100L22larf_left_kernel_smallILi64EfiPfEEvT1_S3_T2_lS3_lPKT0_lS4_lS3_l ; -- Begin function _ZN9rocsolver6v33100L22larf_left_kernel_smallILi64EfiPfEEvT1_S3_T2_lS3_lPKT0_lS4_lS3_l
	.p2align	8
	.type	_ZN9rocsolver6v33100L22larf_left_kernel_smallILi64EfiPfEEvT1_S3_T2_lS3_lPKT0_lS4_lS3_l,@function
_ZN9rocsolver6v33100L22larf_left_kernel_smallILi64EfiPfEEvT1_S3_T2_lS3_lPKT0_lS4_lS3_l: ; @_ZN9rocsolver6v33100L22larf_left_kernel_smallILi64EfiPfEEvT1_S3_T2_lS3_lPKT0_lS4_lS3_l
; %bb.0:
	s_clause 0x2
	s_load_b64 s[12:13], s[0:1], 0x0
	s_load_b256 s[4:11], s[0:1], 0x20
	s_load_b64 s[16:17], s[0:1], 0x40
	v_lshlrev_b32_e32 v5, 2, v0
	s_mov_b32 s14, ttmp9
	s_ashr_i32 s15, ttmp9, 31
	s_wait_kmcnt 0x0
	v_cmp_gt_i32_e64 s2, s12, v0
	s_and_saveexec_b32 s3, s2
	s_cbranch_execz .LBB0_3
; %bb.1:
	s_clause 0x1
	s_load_b128 s[20:23], s[0:1], 0x8
	s_load_b32 s24, s[0:1], 0x18
	s_mul_u64 s[4:5], s[4:5], s[14:15]
	s_sub_co_i32 s25, 1, s12
	s_lshl_b64 s[4:5], s[4:5], 2
	v_dual_mov_b32 v4, v0 :: v_dual_lshlrev_b32 v3, 2, v0
	s_wait_kmcnt 0x0
	s_lshl_b64 s[18:19], s[22:23], 2
	s_mul_i32 s22, s24, s25
	s_cmp_lt_i32 s24, 1
	s_add_nc_u64 s[4:5], s[20:21], s[4:5]
	s_cselect_b32 s22, s22, 0
	s_add_nc_u64 s[4:5], s[4:5], s[18:19]
	v_mad_co_u64_u32 v[1:2], null, v0, s24, s[22:23]
	s_mov_b32 s18, 0
	s_lshl_b32 s19, s24, 6
.LBB0_2:                                ; =>This Inner Loop Header: Depth=1
	v_ashrrev_i32_e32 v2, 31, v1
	v_add_nc_u32_e32 v4, 64, v4
	s_delay_alu instid0(VALU_DEP_2) | instskip(SKIP_1) | instid1(VALU_DEP_2)
	v_lshlrev_b64_e32 v[6:7], 2, v[1:2]
	v_add_nc_u32_e32 v1, s19, v1
	v_add_co_u32 v6, vcc_lo, s4, v6
	s_wait_alu 0xfffd
	s_delay_alu instid0(VALU_DEP_3)
	v_add_co_ci_u32_e64 v7, null, s5, v7, vcc_lo
	v_cmp_le_i32_e32 vcc_lo, s12, v4
	global_load_b32 v2, v[6:7], off
	s_or_b32 s18, vcc_lo, s18
	s_wait_loadcnt 0x0
	ds_store_b32 v3, v2
	v_add_nc_u32_e32 v3, 0x100, v3
	s_wait_alu 0xfffe
	s_and_not1_b32 exec_lo, exec_lo, s18
	s_cbranch_execnz .LBB0_2
.LBB0_3:
	s_or_b32 exec_lo, exec_lo, s3
	s_cmp_ge_i32 ttmp7, s13
	s_wait_dscnt 0x0
	s_barrier_signal -1
	s_barrier_wait -1
	global_inv scope:SCOPE_SE
	s_cbranch_scc1 .LBB0_23
; %bb.4:
	s_clause 0x1
	s_load_b64 s[4:5], s[0:1], 0x50
	s_load_b32 s3, s[0:1], 0x48
	s_mul_u64 s[8:9], s[8:9], s[14:15]
	v_and_b32_e32 v1, 31, v0
	s_lshl_b64 s[20:21], s[8:9], 2
	s_cmp_gt_i32 s12, 1
	v_mbcnt_lo_u32_b32 v8, -1, 0
	s_cselect_b32 s8, -1, 0
	v_lshrrev_b32_e32 v6, 3, v0
	v_cmp_eq_u32_e64 s0, 0, v0
	v_mov_b32_e32 v7, 0
	v_cmp_eq_u32_e64 s1, 0, v1
	v_lshl_or_b32 v11, v8, 2, 64
	s_mov_b32 s18, ttmp7
	s_wait_kmcnt 0x0
	s_mul_u64 s[4:5], s[4:5], s[14:15]
	s_lshl_b64 s[14:15], s[16:17], 2
	s_wait_alu 0xfffe
	s_lshl_b64 s[4:5], s[4:5], 2
	s_lshl_b32 s9, s3, 6
	s_wait_alu 0xfffe
	s_add_nc_u64 s[4:5], s[4:5], s[14:15]
	s_wait_alu 0xfffe
	s_add_nc_u64 s[4:5], s[10:11], s[4:5]
	s_wait_alu 0xfffe
	v_add_co_u32 v9, s4, s4, v5
	s_wait_alu 0xf1ff
	v_add_co_ci_u32_e64 v10, null, s5, 0, s4
	s_add_nc_u64 s[4:5], s[6:7], s[20:21]
	s_mul_i32 s6, ttmp7, s3
	s_branch .LBB0_6
.LBB0_5:                                ;   in Loop: Header=BB0_6 Depth=1
	s_or_b32 exec_lo, exec_lo, s7
	s_add_co_i32 s18, s18, 64
	s_add_co_i32 s6, s6, s9
	s_wait_alu 0xfffe
	s_cmp_ge_i32 s18, s13
	s_cbranch_scc1 .LBB0_23
.LBB0_6:                                ; =>This Loop Header: Depth=1
                                        ;     Child Loop BB0_8 Depth 2
                                        ;     Child Loop BB0_22 Depth 2
	s_ashr_i32 s7, s6, 31
	v_mov_b32_e32 v12, 0
	s_lshl_b64 s[10:11], s[6:7], 2
	s_wait_alu 0xfffe
	v_add_co_u32 v1, vcc_lo, v9, s10
	s_wait_alu 0xfffd
	v_add_co_ci_u32_e64 v2, null, s11, v10, vcc_lo
	s_and_saveexec_b32 s7, s2
	s_cbranch_execz .LBB0_10
; %bb.7:                                ;   in Loop: Header=BB0_6 Depth=1
	v_dual_mov_b32 v4, v2 :: v_dual_mov_b32 v13, v5
	v_dual_mov_b32 v12, 0 :: v_dual_mov_b32 v3, v1
	v_mov_b32_e32 v14, v0
	s_mov_b32 s10, 0
.LBB0_8:                                ;   Parent Loop BB0_6 Depth=1
                                        ; =>  This Inner Loop Header: Depth=2
	global_load_b32 v15, v[3:4], off
	ds_load_b32 v16, v13
	v_add_nc_u32_e32 v14, 64, v14
	v_add_co_u32 v3, vcc_lo, 0x100, v3
	v_add_nc_u32_e32 v13, 0x100, v13
	s_wait_alu 0xfffd
	v_add_co_ci_u32_e64 v4, null, 0, v4, vcc_lo
	v_cmp_le_i32_e64 s3, s12, v14
	s_wait_alu 0xfffe
	s_or_b32 s10, s3, s10
	s_wait_loadcnt_dscnt 0x0
	v_fmac_f32_e32 v12, v16, v15
	s_wait_alu 0xfffe
	s_and_not1_b32 exec_lo, exec_lo, s10
	s_cbranch_execnz .LBB0_8
; %bb.9:                                ;   in Loop: Header=BB0_6 Depth=1
	s_or_b32 exec_lo, exec_lo, s10
.LBB0_10:                               ;   in Loop: Header=BB0_6 Depth=1
	s_delay_alu instid0(SALU_CYCLE_1) | instskip(NEXT) | instid1(SALU_CYCLE_1)
	s_or_b32 exec_lo, exec_lo, s7
	s_and_b32 vcc_lo, exec_lo, s8
	s_wait_alu 0xfffe
	s_cbranch_vccz .LBB0_17
; %bb.11:                               ;   in Loop: Header=BB0_6 Depth=1
	v_cmp_ne_u32_e32 vcc_lo, 31, v8
	s_wait_alu 0xfffd
	v_add_co_ci_u32_e64 v3, null, 0, v8, vcc_lo
	v_cmp_gt_u32_e32 vcc_lo, 30, v8
	s_delay_alu instid0(VALU_DEP_2)
	v_lshlrev_b32_e32 v3, 2, v3
	s_wait_alu 0xfffd
	v_cndmask_b32_e64 v4, 0, 2, vcc_lo
	v_cmp_gt_u32_e32 vcc_lo, 28, v8
	ds_bpermute_b32 v3, v3, v12
	v_add_lshl_u32 v4, v4, v8, 2
	s_wait_alu 0xfffd
	v_cndmask_b32_e64 v13, 0, 4, vcc_lo
	v_cmp_gt_u32_e32 vcc_lo, 24, v8
	s_delay_alu instid0(VALU_DEP_2)
	v_add_lshl_u32 v13, v13, v8, 2
	s_wait_dscnt 0x0
	v_add_f32_e32 v3, v12, v3
	ds_bpermute_b32 v4, v4, v3
	s_wait_dscnt 0x0
	v_add_f32_e32 v3, v3, v4
	ds_bpermute_b32 v4, v13, v3
	s_wait_alu 0xfffd
	v_cndmask_b32_e64 v13, 0, 8, vcc_lo
	s_wait_dscnt 0x0
	v_add_f32_e32 v3, v3, v4
	s_delay_alu instid0(VALU_DEP_2)
	v_add_lshl_u32 v4, v13, v8, 2
	ds_bpermute_b32 v4, v4, v3
	s_wait_dscnt 0x0
	v_add_f32_e32 v3, v3, v4
	ds_bpermute_b32 v4, v11, v3
	s_wait_dscnt 0x0
	v_add_f32_e32 v4, v3, v4
	s_and_saveexec_b32 s3, s1
; %bb.12:                               ;   in Loop: Header=BB0_6 Depth=1
	ds_store_b32 v6, v4 offset:8192
; %bb.13:                               ;   in Loop: Header=BB0_6 Depth=1
	s_wait_alu 0xfffe
	s_or_b32 exec_lo, exec_lo, s3
	s_mov_b32 s7, 0
	s_mov_b32 s3, 0
	s_wait_loadcnt_dscnt 0x0
	s_barrier_signal -1
	s_barrier_wait -1
	global_inv scope:SCOPE_SE
                                        ; implicit-def: $vgpr3
	s_and_saveexec_b32 s10, s0
	s_wait_alu 0xfffe
	s_xor_b32 s10, exec_lo, s10
	s_cbranch_execz .LBB0_15
; %bb.14:                               ;   in Loop: Header=BB0_6 Depth=1
	ds_load_b32 v3, v7 offset:8196
	s_mov_b32 s3, exec_lo
	s_wait_dscnt 0x0
	v_add_f32_e32 v3, v4, v3
.LBB0_15:                               ;   in Loop: Header=BB0_6 Depth=1
	s_wait_alu 0xfffe
	s_or_b32 exec_lo, exec_lo, s10
	s_delay_alu instid0(SALU_CYCLE_1)
	s_and_b32 vcc_lo, exec_lo, s7
	s_wait_alu 0xfffe
	s_cbranch_vccnz .LBB0_18
.LBB0_16:                               ;   in Loop: Header=BB0_6 Depth=1
	v_mov_b32_e32 v12, v3
	s_wait_alu 0xfffe
	s_and_saveexec_b32 s7, s3
	s_cbranch_execnz .LBB0_19
	s_branch .LBB0_20
.LBB0_17:                               ;   in Loop: Header=BB0_6 Depth=1
	s_mov_b32 s3, 0
                                        ; implicit-def: $vgpr3
	s_cbranch_execz .LBB0_16
.LBB0_18:                               ;   in Loop: Header=BB0_6 Depth=1
	s_wait_alu 0xfffe
	s_and_not1_b32 s3, s3, exec_lo
	s_and_b32 s7, s0, exec_lo
	s_wait_alu 0xfffe
	s_or_b32 s3, s3, s7
	s_wait_alu 0xfffe
	s_and_saveexec_b32 s7, s3
.LBB0_19:                               ;   in Loop: Header=BB0_6 Depth=1
	ds_store_b32 v7, v12 offset:8192
.LBB0_20:                               ;   in Loop: Header=BB0_6 Depth=1
	s_or_b32 exec_lo, exec_lo, s7
	s_wait_loadcnt_dscnt 0x0
	s_barrier_signal -1
	s_barrier_wait -1
	global_inv scope:SCOPE_SE
	s_and_saveexec_b32 s7, s2
	s_cbranch_execz .LBB0_5
; %bb.21:                               ;   in Loop: Header=BB0_6 Depth=1
	global_load_b32 v3, v7, s[4:5]
	ds_load_b32 v4, v7 offset:8192
	s_mov_b32 s10, 0
	s_wait_loadcnt 0x0
	v_xor_b32_e32 v12, 0x80000000, v3
	s_wait_dscnt 0x0
	s_delay_alu instid0(VALU_DEP_1)
	v_dual_mov_b32 v3, v5 :: v_dual_mul_f32 v4, v4, v12
	v_mov_b32_e32 v12, v0
.LBB0_22:                               ;   Parent Loop BB0_6 Depth=1
                                        ; =>  This Inner Loop Header: Depth=2
	global_load_b32 v13, v[1:2], off
	ds_load_b32 v14, v3
	v_add_nc_u32_e32 v12, 64, v12
	v_add_nc_u32_e32 v3, 0x100, v3
	s_wait_loadcnt_dscnt 0x0
	v_fmac_f32_e32 v13, v4, v14
	s_delay_alu instid0(VALU_DEP_3)
	v_cmp_le_i32_e32 vcc_lo, s12, v12
	global_store_b32 v[1:2], v13, off
	v_add_co_u32 v1, s3, 0x100, v1
	s_wait_alu 0xf1ff
	v_add_co_ci_u32_e64 v2, null, 0, v2, s3
	s_wait_alu 0xfffe
	s_or_b32 s10, vcc_lo, s10
	s_wait_alu 0xfffe
	s_and_not1_b32 exec_lo, exec_lo, s10
	s_cbranch_execnz .LBB0_22
	s_branch .LBB0_5
.LBB0_23:
	s_endpgm
	.section	.rodata,"a",@progbits
	.p2align	6, 0x0
	.amdhsa_kernel _ZN9rocsolver6v33100L22larf_left_kernel_smallILi64EfiPfEEvT1_S3_T2_lS3_lPKT0_lS4_lS3_l
		.amdhsa_group_segment_fixed_size 8448
		.amdhsa_private_segment_fixed_size 0
		.amdhsa_kernarg_size 88
		.amdhsa_user_sgpr_count 2
		.amdhsa_user_sgpr_dispatch_ptr 0
		.amdhsa_user_sgpr_queue_ptr 0
		.amdhsa_user_sgpr_kernarg_segment_ptr 1
		.amdhsa_user_sgpr_dispatch_id 0
		.amdhsa_user_sgpr_private_segment_size 0
		.amdhsa_wavefront_size32 1
		.amdhsa_uses_dynamic_stack 0
		.amdhsa_enable_private_segment 0
		.amdhsa_system_sgpr_workgroup_id_x 1
		.amdhsa_system_sgpr_workgroup_id_y 1
		.amdhsa_system_sgpr_workgroup_id_z 0
		.amdhsa_system_sgpr_workgroup_info 0
		.amdhsa_system_vgpr_workitem_id 0
		.amdhsa_next_free_vgpr 169
		.amdhsa_next_free_sgpr 26
		.amdhsa_reserve_vcc 1
		.amdhsa_float_round_mode_32 0
		.amdhsa_float_round_mode_16_64 0
		.amdhsa_float_denorm_mode_32 3
		.amdhsa_float_denorm_mode_16_64 3
		.amdhsa_fp16_overflow 0
		.amdhsa_workgroup_processor_mode 1
		.amdhsa_memory_ordered 1
		.amdhsa_forward_progress 1
		.amdhsa_inst_pref_size 10
		.amdhsa_round_robin_scheduling 0
		.amdhsa_exception_fp_ieee_invalid_op 0
		.amdhsa_exception_fp_denorm_src 0
		.amdhsa_exception_fp_ieee_div_zero 0
		.amdhsa_exception_fp_ieee_overflow 0
		.amdhsa_exception_fp_ieee_underflow 0
		.amdhsa_exception_fp_ieee_inexact 0
		.amdhsa_exception_int_div_zero 0
	.end_amdhsa_kernel
	.section	.text._ZN9rocsolver6v33100L22larf_left_kernel_smallILi64EfiPfEEvT1_S3_T2_lS3_lPKT0_lS4_lS3_l,"axG",@progbits,_ZN9rocsolver6v33100L22larf_left_kernel_smallILi64EfiPfEEvT1_S3_T2_lS3_lPKT0_lS4_lS3_l,comdat
.Lfunc_end0:
	.size	_ZN9rocsolver6v33100L22larf_left_kernel_smallILi64EfiPfEEvT1_S3_T2_lS3_lPKT0_lS4_lS3_l, .Lfunc_end0-_ZN9rocsolver6v33100L22larf_left_kernel_smallILi64EfiPfEEvT1_S3_T2_lS3_lPKT0_lS4_lS3_l
                                        ; -- End function
	.set _ZN9rocsolver6v33100L22larf_left_kernel_smallILi64EfiPfEEvT1_S3_T2_lS3_lPKT0_lS4_lS3_l.num_vgpr, 17
	.set _ZN9rocsolver6v33100L22larf_left_kernel_smallILi64EfiPfEEvT1_S3_T2_lS3_lPKT0_lS4_lS3_l.num_agpr, 0
	.set _ZN9rocsolver6v33100L22larf_left_kernel_smallILi64EfiPfEEvT1_S3_T2_lS3_lPKT0_lS4_lS3_l.numbered_sgpr, 26
	.set _ZN9rocsolver6v33100L22larf_left_kernel_smallILi64EfiPfEEvT1_S3_T2_lS3_lPKT0_lS4_lS3_l.num_named_barrier, 0
	.set _ZN9rocsolver6v33100L22larf_left_kernel_smallILi64EfiPfEEvT1_S3_T2_lS3_lPKT0_lS4_lS3_l.private_seg_size, 0
	.set _ZN9rocsolver6v33100L22larf_left_kernel_smallILi64EfiPfEEvT1_S3_T2_lS3_lPKT0_lS4_lS3_l.uses_vcc, 1
	.set _ZN9rocsolver6v33100L22larf_left_kernel_smallILi64EfiPfEEvT1_S3_T2_lS3_lPKT0_lS4_lS3_l.uses_flat_scratch, 0
	.set _ZN9rocsolver6v33100L22larf_left_kernel_smallILi64EfiPfEEvT1_S3_T2_lS3_lPKT0_lS4_lS3_l.has_dyn_sized_stack, 0
	.set _ZN9rocsolver6v33100L22larf_left_kernel_smallILi64EfiPfEEvT1_S3_T2_lS3_lPKT0_lS4_lS3_l.has_recursion, 0
	.set _ZN9rocsolver6v33100L22larf_left_kernel_smallILi64EfiPfEEvT1_S3_T2_lS3_lPKT0_lS4_lS3_l.has_indirect_call, 0
	.section	.AMDGPU.csdata,"",@progbits
; Kernel info:
; codeLenInByte = 1208
; TotalNumSgprs: 28
; NumVgprs: 17
; ScratchSize: 0
; MemoryBound: 0
; FloatMode: 240
; IeeeMode: 1
; LDSByteSize: 8448 bytes/workgroup (compile time only)
; SGPRBlocks: 0
; VGPRBlocks: 21
; NumSGPRsForWavesPerEU: 28
; NumVGPRsForWavesPerEU: 169
; Occupancy: 8
; WaveLimiterHint : 0
; COMPUTE_PGM_RSRC2:SCRATCH_EN: 0
; COMPUTE_PGM_RSRC2:USER_SGPR: 2
; COMPUTE_PGM_RSRC2:TRAP_HANDLER: 0
; COMPUTE_PGM_RSRC2:TGID_X_EN: 1
; COMPUTE_PGM_RSRC2:TGID_Y_EN: 1
; COMPUTE_PGM_RSRC2:TGID_Z_EN: 0
; COMPUTE_PGM_RSRC2:TIDIG_COMP_CNT: 0
	.section	.text._ZN9rocsolver6v33100L22larf_left_kernel_smallILi128EfiPfEEvT1_S3_T2_lS3_lPKT0_lS4_lS3_l,"axG",@progbits,_ZN9rocsolver6v33100L22larf_left_kernel_smallILi128EfiPfEEvT1_S3_T2_lS3_lPKT0_lS4_lS3_l,comdat
	.globl	_ZN9rocsolver6v33100L22larf_left_kernel_smallILi128EfiPfEEvT1_S3_T2_lS3_lPKT0_lS4_lS3_l ; -- Begin function _ZN9rocsolver6v33100L22larf_left_kernel_smallILi128EfiPfEEvT1_S3_T2_lS3_lPKT0_lS4_lS3_l
	.p2align	8
	.type	_ZN9rocsolver6v33100L22larf_left_kernel_smallILi128EfiPfEEvT1_S3_T2_lS3_lPKT0_lS4_lS3_l,@function
_ZN9rocsolver6v33100L22larf_left_kernel_smallILi128EfiPfEEvT1_S3_T2_lS3_lPKT0_lS4_lS3_l: ; @_ZN9rocsolver6v33100L22larf_left_kernel_smallILi128EfiPfEEvT1_S3_T2_lS3_lPKT0_lS4_lS3_l
; %bb.0:
	s_clause 0x2
	s_load_b64 s[12:13], s[0:1], 0x0
	s_load_b256 s[4:11], s[0:1], 0x20
	s_load_b64 s[16:17], s[0:1], 0x40
	v_lshlrev_b32_e32 v5, 2, v0
	s_mov_b32 s14, ttmp9
	s_ashr_i32 s15, ttmp9, 31
	s_wait_kmcnt 0x0
	v_cmp_gt_i32_e64 s2, s12, v0
	s_and_saveexec_b32 s3, s2
	s_cbranch_execz .LBB1_3
; %bb.1:
	s_clause 0x1
	s_load_b128 s[20:23], s[0:1], 0x8
	s_load_b32 s24, s[0:1], 0x18
	s_mul_u64 s[4:5], s[4:5], s[14:15]
	s_sub_co_i32 s25, 1, s12
	s_lshl_b64 s[4:5], s[4:5], 2
	v_dual_mov_b32 v4, v0 :: v_dual_lshlrev_b32 v3, 2, v0
	s_wait_kmcnt 0x0
	s_lshl_b64 s[18:19], s[22:23], 2
	s_mul_i32 s22, s24, s25
	s_cmp_lt_i32 s24, 1
	s_add_nc_u64 s[4:5], s[20:21], s[4:5]
	s_cselect_b32 s22, s22, 0
	s_add_nc_u64 s[4:5], s[4:5], s[18:19]
	v_mad_co_u64_u32 v[1:2], null, v0, s24, s[22:23]
	s_mov_b32 s18, 0
	s_lshl_b32 s19, s24, 7
.LBB1_2:                                ; =>This Inner Loop Header: Depth=1
	v_ashrrev_i32_e32 v2, 31, v1
	v_add_nc_u32_e32 v4, 0x80, v4
	s_delay_alu instid0(VALU_DEP_2) | instskip(SKIP_1) | instid1(VALU_DEP_2)
	v_lshlrev_b64_e32 v[6:7], 2, v[1:2]
	v_add_nc_u32_e32 v1, s19, v1
	v_add_co_u32 v6, vcc_lo, s4, v6
	s_wait_alu 0xfffd
	s_delay_alu instid0(VALU_DEP_3)
	v_add_co_ci_u32_e64 v7, null, s5, v7, vcc_lo
	v_cmp_le_i32_e32 vcc_lo, s12, v4
	global_load_b32 v2, v[6:7], off
	s_or_b32 s18, vcc_lo, s18
	s_wait_loadcnt 0x0
	ds_store_b32 v3, v2
	v_add_nc_u32_e32 v3, 0x200, v3
	s_wait_alu 0xfffe
	s_and_not1_b32 exec_lo, exec_lo, s18
	s_cbranch_execnz .LBB1_2
.LBB1_3:
	s_or_b32 exec_lo, exec_lo, s3
	s_cmp_ge_i32 ttmp7, s13
	s_wait_dscnt 0x0
	s_barrier_signal -1
	s_barrier_wait -1
	global_inv scope:SCOPE_SE
	s_cbranch_scc1 .LBB1_23
; %bb.4:
	s_clause 0x1
	s_load_b64 s[4:5], s[0:1], 0x50
	s_load_b32 s3, s[0:1], 0x48
	s_mul_u64 s[8:9], s[8:9], s[14:15]
	v_dual_mov_b32 v12, 0x2004 :: v_dual_and_b32 v1, 31, v0
	s_lshl_b64 s[20:21], s[8:9], 2
	s_cmp_gt_i32 s12, 1
	v_mbcnt_lo_u32_b32 v8, -1, 0
	s_cselect_b32 s8, -1, 0
	v_lshrrev_b32_e32 v6, 3, v0
	v_cmp_eq_u32_e64 s0, 0, v0
	v_mov_b32_e32 v7, 0
	v_cmp_eq_u32_e64 s1, 0, v1
	v_lshl_or_b32 v9, v8, 2, 64
	s_mov_b32 s18, ttmp7
	s_wait_kmcnt 0x0
	s_mul_u64 s[4:5], s[4:5], s[14:15]
	s_lshl_b64 s[14:15], s[16:17], 2
	s_wait_alu 0xfffe
	s_lshl_b64 s[4:5], s[4:5], 2
	s_lshl_b32 s9, s3, 6
	s_wait_alu 0xfffe
	s_add_nc_u64 s[4:5], s[4:5], s[14:15]
	s_wait_alu 0xfffe
	s_add_nc_u64 s[4:5], s[10:11], s[4:5]
	s_wait_alu 0xfffe
	v_add_co_u32 v10, s4, s4, v5
	s_wait_alu 0xf1ff
	v_add_co_ci_u32_e64 v11, null, s5, 0, s4
	s_add_nc_u64 s[4:5], s[6:7], s[20:21]
	s_mul_i32 s6, ttmp7, s3
	s_branch .LBB1_6
.LBB1_5:                                ;   in Loop: Header=BB1_6 Depth=1
	s_or_b32 exec_lo, exec_lo, s7
	s_add_co_i32 s18, s18, 64
	s_add_co_i32 s6, s6, s9
	s_wait_alu 0xfffe
	s_cmp_ge_i32 s18, s13
	s_cbranch_scc1 .LBB1_23
.LBB1_6:                                ; =>This Loop Header: Depth=1
                                        ;     Child Loop BB1_8 Depth 2
                                        ;     Child Loop BB1_22 Depth 2
	s_ashr_i32 s7, s6, 31
	v_mov_b32_e32 v13, 0
	s_lshl_b64 s[10:11], s[6:7], 2
	s_wait_alu 0xfffe
	v_add_co_u32 v1, vcc_lo, v10, s10
	s_wait_alu 0xfffd
	v_add_co_ci_u32_e64 v2, null, s11, v11, vcc_lo
	s_and_saveexec_b32 s7, s2
	s_cbranch_execz .LBB1_10
; %bb.7:                                ;   in Loop: Header=BB1_6 Depth=1
	v_dual_mov_b32 v13, 0 :: v_dual_mov_b32 v4, v2
	v_dual_mov_b32 v3, v1 :: v_dual_mov_b32 v14, v5
	v_mov_b32_e32 v15, v0
	s_mov_b32 s10, 0
.LBB1_8:                                ;   Parent Loop BB1_6 Depth=1
                                        ; =>  This Inner Loop Header: Depth=2
	global_load_b32 v16, v[3:4], off
	ds_load_b32 v17, v14
	v_add_nc_u32_e32 v15, 0x80, v15
	v_add_co_u32 v3, vcc_lo, 0x200, v3
	v_add_nc_u32_e32 v14, 0x200, v14
	s_wait_alu 0xfffd
	v_add_co_ci_u32_e64 v4, null, 0, v4, vcc_lo
	v_cmp_le_i32_e64 s3, s12, v15
	s_wait_alu 0xfffe
	s_or_b32 s10, s3, s10
	s_wait_loadcnt_dscnt 0x0
	v_fmac_f32_e32 v13, v17, v16
	s_wait_alu 0xfffe
	s_and_not1_b32 exec_lo, exec_lo, s10
	s_cbranch_execnz .LBB1_8
; %bb.9:                                ;   in Loop: Header=BB1_6 Depth=1
	s_or_b32 exec_lo, exec_lo, s10
.LBB1_10:                               ;   in Loop: Header=BB1_6 Depth=1
	s_delay_alu instid0(SALU_CYCLE_1) | instskip(NEXT) | instid1(SALU_CYCLE_1)
	s_or_b32 exec_lo, exec_lo, s7
	s_and_b32 vcc_lo, exec_lo, s8
	s_wait_alu 0xfffe
	s_cbranch_vccz .LBB1_17
; %bb.11:                               ;   in Loop: Header=BB1_6 Depth=1
	v_cmp_ne_u32_e32 vcc_lo, 31, v8
	s_wait_alu 0xfffd
	v_add_co_ci_u32_e64 v3, null, 0, v8, vcc_lo
	v_cmp_gt_u32_e32 vcc_lo, 30, v8
	s_delay_alu instid0(VALU_DEP_2)
	v_lshlrev_b32_e32 v3, 2, v3
	s_wait_alu 0xfffd
	v_cndmask_b32_e64 v4, 0, 2, vcc_lo
	v_cmp_gt_u32_e32 vcc_lo, 28, v8
	ds_bpermute_b32 v3, v3, v13
	v_add_lshl_u32 v4, v4, v8, 2
	s_wait_alu 0xfffd
	v_cndmask_b32_e64 v14, 0, 4, vcc_lo
	v_cmp_gt_u32_e32 vcc_lo, 24, v8
	s_delay_alu instid0(VALU_DEP_2)
	v_add_lshl_u32 v14, v14, v8, 2
	s_wait_dscnt 0x0
	v_add_f32_e32 v3, v13, v3
	ds_bpermute_b32 v4, v4, v3
	s_wait_dscnt 0x0
	v_add_f32_e32 v3, v3, v4
	ds_bpermute_b32 v4, v14, v3
	s_wait_alu 0xfffd
	v_cndmask_b32_e64 v14, 0, 8, vcc_lo
	s_wait_dscnt 0x0
	v_add_f32_e32 v3, v3, v4
	s_delay_alu instid0(VALU_DEP_2)
	v_add_lshl_u32 v4, v14, v8, 2
	ds_bpermute_b32 v4, v4, v3
	s_wait_dscnt 0x0
	v_add_f32_e32 v3, v3, v4
	ds_bpermute_b32 v4, v9, v3
	s_wait_dscnt 0x0
	v_add_f32_e32 v4, v3, v4
	s_and_saveexec_b32 s3, s1
; %bb.12:                               ;   in Loop: Header=BB1_6 Depth=1
	ds_store_b32 v6, v4 offset:8192
; %bb.13:                               ;   in Loop: Header=BB1_6 Depth=1
	s_wait_alu 0xfffe
	s_or_b32 exec_lo, exec_lo, s3
	s_mov_b32 s7, 0
	s_mov_b32 s3, 0
	s_wait_loadcnt_dscnt 0x0
	s_barrier_signal -1
	s_barrier_wait -1
	global_inv scope:SCOPE_SE
                                        ; implicit-def: $vgpr3
	s_and_saveexec_b32 s10, s0
	s_wait_alu 0xfffe
	s_xor_b32 s10, exec_lo, s10
	s_cbranch_execz .LBB1_15
; %bb.14:                               ;   in Loop: Header=BB1_6 Depth=1
	ds_load_2addr_b32 v[14:15], v12 offset1:1
	ds_load_b32 v3, v7 offset:8204
	s_mov_b32 s3, exec_lo
	s_wait_dscnt 0x1
	v_add_f32_e32 v4, v4, v14
	s_delay_alu instid0(VALU_DEP_1) | instskip(SKIP_1) | instid1(VALU_DEP_1)
	v_add_f32_e32 v4, v4, v15
	s_wait_dscnt 0x0
	v_add_f32_e32 v3, v4, v3
.LBB1_15:                               ;   in Loop: Header=BB1_6 Depth=1
	s_wait_alu 0xfffe
	s_or_b32 exec_lo, exec_lo, s10
	s_delay_alu instid0(SALU_CYCLE_1)
	s_and_b32 vcc_lo, exec_lo, s7
	s_wait_alu 0xfffe
	s_cbranch_vccnz .LBB1_18
.LBB1_16:                               ;   in Loop: Header=BB1_6 Depth=1
	v_mov_b32_e32 v13, v3
	s_wait_alu 0xfffe
	s_and_saveexec_b32 s7, s3
	s_cbranch_execnz .LBB1_19
	s_branch .LBB1_20
.LBB1_17:                               ;   in Loop: Header=BB1_6 Depth=1
	s_mov_b32 s3, 0
                                        ; implicit-def: $vgpr3
	s_cbranch_execz .LBB1_16
.LBB1_18:                               ;   in Loop: Header=BB1_6 Depth=1
	s_wait_alu 0xfffe
	s_and_not1_b32 s3, s3, exec_lo
	s_and_b32 s7, s0, exec_lo
	s_wait_alu 0xfffe
	s_or_b32 s3, s3, s7
	s_wait_alu 0xfffe
	s_and_saveexec_b32 s7, s3
.LBB1_19:                               ;   in Loop: Header=BB1_6 Depth=1
	ds_store_b32 v7, v13 offset:8192
.LBB1_20:                               ;   in Loop: Header=BB1_6 Depth=1
	s_or_b32 exec_lo, exec_lo, s7
	s_wait_loadcnt_dscnt 0x0
	s_barrier_signal -1
	s_barrier_wait -1
	global_inv scope:SCOPE_SE
	s_and_saveexec_b32 s7, s2
	s_cbranch_execz .LBB1_5
; %bb.21:                               ;   in Loop: Header=BB1_6 Depth=1
	global_load_b32 v3, v7, s[4:5]
	ds_load_b32 v4, v7 offset:8192
	s_mov_b32 s10, 0
	s_wait_loadcnt 0x0
	v_xor_b32_e32 v13, 0x80000000, v3
	s_wait_dscnt 0x0
	s_delay_alu instid0(VALU_DEP_1)
	v_dual_mov_b32 v3, v5 :: v_dual_mul_f32 v4, v4, v13
	v_mov_b32_e32 v13, v0
.LBB1_22:                               ;   Parent Loop BB1_6 Depth=1
                                        ; =>  This Inner Loop Header: Depth=2
	global_load_b32 v14, v[1:2], off
	ds_load_b32 v15, v3
	v_add_nc_u32_e32 v13, 0x80, v13
	v_add_nc_u32_e32 v3, 0x200, v3
	s_wait_loadcnt_dscnt 0x0
	v_fmac_f32_e32 v14, v4, v15
	s_delay_alu instid0(VALU_DEP_3)
	v_cmp_le_i32_e32 vcc_lo, s12, v13
	global_store_b32 v[1:2], v14, off
	v_add_co_u32 v1, s3, 0x200, v1
	s_wait_alu 0xf1ff
	v_add_co_ci_u32_e64 v2, null, 0, v2, s3
	s_wait_alu 0xfffe
	s_or_b32 s10, vcc_lo, s10
	s_wait_alu 0xfffe
	s_and_not1_b32 exec_lo, exec_lo, s10
	s_cbranch_execnz .LBB1_22
	s_branch .LBB1_5
.LBB1_23:
	s_endpgm
	.section	.rodata,"a",@progbits
	.p2align	6, 0x0
	.amdhsa_kernel _ZN9rocsolver6v33100L22larf_left_kernel_smallILi128EfiPfEEvT1_S3_T2_lS3_lPKT0_lS4_lS3_l
		.amdhsa_group_segment_fixed_size 8704
		.amdhsa_private_segment_fixed_size 0
		.amdhsa_kernarg_size 88
		.amdhsa_user_sgpr_count 2
		.amdhsa_user_sgpr_dispatch_ptr 0
		.amdhsa_user_sgpr_queue_ptr 0
		.amdhsa_user_sgpr_kernarg_segment_ptr 1
		.amdhsa_user_sgpr_dispatch_id 0
		.amdhsa_user_sgpr_private_segment_size 0
		.amdhsa_wavefront_size32 1
		.amdhsa_uses_dynamic_stack 0
		.amdhsa_enable_private_segment 0
		.amdhsa_system_sgpr_workgroup_id_x 1
		.amdhsa_system_sgpr_workgroup_id_y 1
		.amdhsa_system_sgpr_workgroup_id_z 0
		.amdhsa_system_sgpr_workgroup_info 0
		.amdhsa_system_vgpr_workitem_id 0
		.amdhsa_next_free_vgpr 18
		.amdhsa_next_free_sgpr 26
		.amdhsa_reserve_vcc 1
		.amdhsa_float_round_mode_32 0
		.amdhsa_float_round_mode_16_64 0
		.amdhsa_float_denorm_mode_32 3
		.amdhsa_float_denorm_mode_16_64 3
		.amdhsa_fp16_overflow 0
		.amdhsa_workgroup_processor_mode 1
		.amdhsa_memory_ordered 1
		.amdhsa_forward_progress 1
		.amdhsa_inst_pref_size 10
		.amdhsa_round_robin_scheduling 0
		.amdhsa_exception_fp_ieee_invalid_op 0
		.amdhsa_exception_fp_denorm_src 0
		.amdhsa_exception_fp_ieee_div_zero 0
		.amdhsa_exception_fp_ieee_overflow 0
		.amdhsa_exception_fp_ieee_underflow 0
		.amdhsa_exception_fp_ieee_inexact 0
		.amdhsa_exception_int_div_zero 0
	.end_amdhsa_kernel
	.section	.text._ZN9rocsolver6v33100L22larf_left_kernel_smallILi128EfiPfEEvT1_S3_T2_lS3_lPKT0_lS4_lS3_l,"axG",@progbits,_ZN9rocsolver6v33100L22larf_left_kernel_smallILi128EfiPfEEvT1_S3_T2_lS3_lPKT0_lS4_lS3_l,comdat
.Lfunc_end1:
	.size	_ZN9rocsolver6v33100L22larf_left_kernel_smallILi128EfiPfEEvT1_S3_T2_lS3_lPKT0_lS4_lS3_l, .Lfunc_end1-_ZN9rocsolver6v33100L22larf_left_kernel_smallILi128EfiPfEEvT1_S3_T2_lS3_lPKT0_lS4_lS3_l
                                        ; -- End function
	.set _ZN9rocsolver6v33100L22larf_left_kernel_smallILi128EfiPfEEvT1_S3_T2_lS3_lPKT0_lS4_lS3_l.num_vgpr, 18
	.set _ZN9rocsolver6v33100L22larf_left_kernel_smallILi128EfiPfEEvT1_S3_T2_lS3_lPKT0_lS4_lS3_l.num_agpr, 0
	.set _ZN9rocsolver6v33100L22larf_left_kernel_smallILi128EfiPfEEvT1_S3_T2_lS3_lPKT0_lS4_lS3_l.numbered_sgpr, 26
	.set _ZN9rocsolver6v33100L22larf_left_kernel_smallILi128EfiPfEEvT1_S3_T2_lS3_lPKT0_lS4_lS3_l.num_named_barrier, 0
	.set _ZN9rocsolver6v33100L22larf_left_kernel_smallILi128EfiPfEEvT1_S3_T2_lS3_lPKT0_lS4_lS3_l.private_seg_size, 0
	.set _ZN9rocsolver6v33100L22larf_left_kernel_smallILi128EfiPfEEvT1_S3_T2_lS3_lPKT0_lS4_lS3_l.uses_vcc, 1
	.set _ZN9rocsolver6v33100L22larf_left_kernel_smallILi128EfiPfEEvT1_S3_T2_lS3_lPKT0_lS4_lS3_l.uses_flat_scratch, 0
	.set _ZN9rocsolver6v33100L22larf_left_kernel_smallILi128EfiPfEEvT1_S3_T2_lS3_lPKT0_lS4_lS3_l.has_dyn_sized_stack, 0
	.set _ZN9rocsolver6v33100L22larf_left_kernel_smallILi128EfiPfEEvT1_S3_T2_lS3_lPKT0_lS4_lS3_l.has_recursion, 0
	.set _ZN9rocsolver6v33100L22larf_left_kernel_smallILi128EfiPfEEvT1_S3_T2_lS3_lPKT0_lS4_lS3_l.has_indirect_call, 0
	.section	.AMDGPU.csdata,"",@progbits
; Kernel info:
; codeLenInByte = 1252
; TotalNumSgprs: 28
; NumVgprs: 18
; ScratchSize: 0
; MemoryBound: 0
; FloatMode: 240
; IeeeMode: 1
; LDSByteSize: 8704 bytes/workgroup (compile time only)
; SGPRBlocks: 0
; VGPRBlocks: 2
; NumSGPRsForWavesPerEU: 28
; NumVGPRsForWavesPerEU: 18
; Occupancy: 15
; WaveLimiterHint : 0
; COMPUTE_PGM_RSRC2:SCRATCH_EN: 0
; COMPUTE_PGM_RSRC2:USER_SGPR: 2
; COMPUTE_PGM_RSRC2:TRAP_HANDLER: 0
; COMPUTE_PGM_RSRC2:TGID_X_EN: 1
; COMPUTE_PGM_RSRC2:TGID_Y_EN: 1
; COMPUTE_PGM_RSRC2:TGID_Z_EN: 0
; COMPUTE_PGM_RSRC2:TIDIG_COMP_CNT: 0
	.section	.text._ZN9rocsolver6v33100L22larf_left_kernel_smallILi256EfiPfEEvT1_S3_T2_lS3_lPKT0_lS4_lS3_l,"axG",@progbits,_ZN9rocsolver6v33100L22larf_left_kernel_smallILi256EfiPfEEvT1_S3_T2_lS3_lPKT0_lS4_lS3_l,comdat
	.globl	_ZN9rocsolver6v33100L22larf_left_kernel_smallILi256EfiPfEEvT1_S3_T2_lS3_lPKT0_lS4_lS3_l ; -- Begin function _ZN9rocsolver6v33100L22larf_left_kernel_smallILi256EfiPfEEvT1_S3_T2_lS3_lPKT0_lS4_lS3_l
	.p2align	8
	.type	_ZN9rocsolver6v33100L22larf_left_kernel_smallILi256EfiPfEEvT1_S3_T2_lS3_lPKT0_lS4_lS3_l,@function
_ZN9rocsolver6v33100L22larf_left_kernel_smallILi256EfiPfEEvT1_S3_T2_lS3_lPKT0_lS4_lS3_l: ; @_ZN9rocsolver6v33100L22larf_left_kernel_smallILi256EfiPfEEvT1_S3_T2_lS3_lPKT0_lS4_lS3_l
; %bb.0:
	s_clause 0x2
	s_load_b64 s[12:13], s[0:1], 0x0
	s_load_b256 s[4:11], s[0:1], 0x20
	s_load_b64 s[16:17], s[0:1], 0x40
	v_lshlrev_b32_e32 v5, 2, v0
	s_mov_b32 s14, ttmp9
	s_ashr_i32 s15, ttmp9, 31
	s_wait_kmcnt 0x0
	v_cmp_gt_i32_e64 s2, s12, v0
	s_and_saveexec_b32 s3, s2
	s_cbranch_execz .LBB2_3
; %bb.1:
	s_clause 0x1
	s_load_b128 s[20:23], s[0:1], 0x8
	s_load_b32 s24, s[0:1], 0x18
	s_mul_u64 s[4:5], s[4:5], s[14:15]
	s_sub_co_i32 s25, 1, s12
	s_lshl_b64 s[4:5], s[4:5], 2
	v_dual_mov_b32 v4, v0 :: v_dual_lshlrev_b32 v3, 2, v0
	s_wait_kmcnt 0x0
	s_lshl_b64 s[18:19], s[22:23], 2
	s_mul_i32 s22, s24, s25
	s_cmp_lt_i32 s24, 1
	s_add_nc_u64 s[4:5], s[20:21], s[4:5]
	s_cselect_b32 s22, s22, 0
	s_add_nc_u64 s[4:5], s[4:5], s[18:19]
	v_mad_co_u64_u32 v[1:2], null, v0, s24, s[22:23]
	s_mov_b32 s18, 0
	s_lshl_b32 s19, s24, 8
.LBB2_2:                                ; =>This Inner Loop Header: Depth=1
	v_ashrrev_i32_e32 v2, 31, v1
	v_add_nc_u32_e32 v4, 0x100, v4
	s_delay_alu instid0(VALU_DEP_2) | instskip(SKIP_1) | instid1(VALU_DEP_2)
	v_lshlrev_b64_e32 v[6:7], 2, v[1:2]
	v_add_nc_u32_e32 v1, s19, v1
	v_add_co_u32 v6, vcc_lo, s4, v6
	s_wait_alu 0xfffd
	s_delay_alu instid0(VALU_DEP_3)
	v_add_co_ci_u32_e64 v7, null, s5, v7, vcc_lo
	v_cmp_le_i32_e32 vcc_lo, s12, v4
	global_load_b32 v2, v[6:7], off
	s_or_b32 s18, vcc_lo, s18
	s_wait_loadcnt 0x0
	ds_store_b32 v3, v2
	v_add_nc_u32_e32 v3, 0x400, v3
	s_wait_alu 0xfffe
	s_and_not1_b32 exec_lo, exec_lo, s18
	s_cbranch_execnz .LBB2_2
.LBB2_3:
	s_or_b32 exec_lo, exec_lo, s3
	s_cmp_ge_i32 ttmp7, s13
	s_wait_dscnt 0x0
	s_barrier_signal -1
	s_barrier_wait -1
	global_inv scope:SCOPE_SE
	s_cbranch_scc1 .LBB2_23
; %bb.4:
	s_clause 0x1
	s_load_b64 s[4:5], s[0:1], 0x50
	s_load_b32 s3, s[0:1], 0x48
	s_mul_u64 s[8:9], s[8:9], s[14:15]
	v_dual_mov_b32 v10, 0x200c :: v_dual_and_b32 v1, 31, v0
	s_lshl_b64 s[20:21], s[8:9], 2
	s_cmp_gt_i32 s12, 1
	v_mbcnt_lo_u32_b32 v8, -1, 0
	s_cselect_b32 s8, -1, 0
	v_lshrrev_b32_e32 v6, 3, v0
	v_cmp_eq_u32_e64 s0, 0, v0
	v_dual_mov_b32 v7, 0 :: v_dual_mov_b32 v14, 0x2014
	v_mov_b32_e32 v9, 0x2004
	v_cmp_eq_u32_e64 s1, 0, v1
	v_lshl_or_b32 v11, v8, 2, 64
	s_mov_b32 s18, ttmp7
	s_wait_kmcnt 0x0
	s_mul_u64 s[4:5], s[4:5], s[14:15]
	s_lshl_b64 s[14:15], s[16:17], 2
	s_wait_alu 0xfffe
	s_lshl_b64 s[4:5], s[4:5], 2
	s_lshl_b32 s9, s3, 6
	s_wait_alu 0xfffe
	s_add_nc_u64 s[4:5], s[4:5], s[14:15]
	s_wait_alu 0xfffe
	s_add_nc_u64 s[4:5], s[10:11], s[4:5]
	s_wait_alu 0xfffe
	v_add_co_u32 v12, s4, s4, v5
	s_wait_alu 0xf1ff
	v_add_co_ci_u32_e64 v13, null, s5, 0, s4
	s_add_nc_u64 s[4:5], s[6:7], s[20:21]
	s_mul_i32 s6, ttmp7, s3
	s_branch .LBB2_6
.LBB2_5:                                ;   in Loop: Header=BB2_6 Depth=1
	s_or_b32 exec_lo, exec_lo, s7
	s_add_co_i32 s18, s18, 64
	s_add_co_i32 s6, s6, s9
	s_wait_alu 0xfffe
	s_cmp_ge_i32 s18, s13
	s_cbranch_scc1 .LBB2_23
.LBB2_6:                                ; =>This Loop Header: Depth=1
                                        ;     Child Loop BB2_8 Depth 2
                                        ;     Child Loop BB2_22 Depth 2
	s_ashr_i32 s7, s6, 31
	v_mov_b32_e32 v15, 0
	s_lshl_b64 s[10:11], s[6:7], 2
	s_wait_alu 0xfffe
	v_add_co_u32 v1, vcc_lo, v12, s10
	s_wait_alu 0xfffd
	v_add_co_ci_u32_e64 v2, null, s11, v13, vcc_lo
	s_and_saveexec_b32 s7, s2
	s_cbranch_execz .LBB2_10
; %bb.7:                                ;   in Loop: Header=BB2_6 Depth=1
	v_dual_mov_b32 v15, 0 :: v_dual_mov_b32 v4, v2
	v_dual_mov_b32 v3, v1 :: v_dual_mov_b32 v16, v5
	v_mov_b32_e32 v17, v0
	s_mov_b32 s10, 0
.LBB2_8:                                ;   Parent Loop BB2_6 Depth=1
                                        ; =>  This Inner Loop Header: Depth=2
	global_load_b32 v18, v[3:4], off
	ds_load_b32 v19, v16
	v_add_nc_u32_e32 v17, 0x100, v17
	v_add_co_u32 v3, vcc_lo, 0x400, v3
	v_add_nc_u32_e32 v16, 0x400, v16
	s_wait_alu 0xfffd
	v_add_co_ci_u32_e64 v4, null, 0, v4, vcc_lo
	v_cmp_le_i32_e64 s3, s12, v17
	s_wait_alu 0xfffe
	s_or_b32 s10, s3, s10
	s_wait_loadcnt_dscnt 0x0
	v_fmac_f32_e32 v15, v19, v18
	s_wait_alu 0xfffe
	s_and_not1_b32 exec_lo, exec_lo, s10
	s_cbranch_execnz .LBB2_8
; %bb.9:                                ;   in Loop: Header=BB2_6 Depth=1
	s_or_b32 exec_lo, exec_lo, s10
.LBB2_10:                               ;   in Loop: Header=BB2_6 Depth=1
	s_delay_alu instid0(SALU_CYCLE_1) | instskip(NEXT) | instid1(SALU_CYCLE_1)
	s_or_b32 exec_lo, exec_lo, s7
	s_and_b32 vcc_lo, exec_lo, s8
	s_wait_alu 0xfffe
	s_cbranch_vccz .LBB2_17
; %bb.11:                               ;   in Loop: Header=BB2_6 Depth=1
	v_cmp_ne_u32_e32 vcc_lo, 31, v8
	s_wait_alu 0xfffd
	v_add_co_ci_u32_e64 v3, null, 0, v8, vcc_lo
	v_cmp_gt_u32_e32 vcc_lo, 30, v8
	s_delay_alu instid0(VALU_DEP_2)
	v_lshlrev_b32_e32 v3, 2, v3
	s_wait_alu 0xfffd
	v_cndmask_b32_e64 v4, 0, 2, vcc_lo
	v_cmp_gt_u32_e32 vcc_lo, 28, v8
	ds_bpermute_b32 v3, v3, v15
	v_add_lshl_u32 v4, v4, v8, 2
	s_wait_alu 0xfffd
	v_cndmask_b32_e64 v16, 0, 4, vcc_lo
	v_cmp_gt_u32_e32 vcc_lo, 24, v8
	s_delay_alu instid0(VALU_DEP_2)
	v_add_lshl_u32 v16, v16, v8, 2
	s_wait_dscnt 0x0
	v_add_f32_e32 v3, v15, v3
	ds_bpermute_b32 v4, v4, v3
	s_wait_dscnt 0x0
	v_add_f32_e32 v3, v3, v4
	ds_bpermute_b32 v4, v16, v3
	s_wait_alu 0xfffd
	v_cndmask_b32_e64 v16, 0, 8, vcc_lo
	s_wait_dscnt 0x0
	v_add_f32_e32 v3, v3, v4
	s_delay_alu instid0(VALU_DEP_2)
	v_add_lshl_u32 v4, v16, v8, 2
	ds_bpermute_b32 v4, v4, v3
	s_wait_dscnt 0x0
	v_add_f32_e32 v3, v3, v4
	ds_bpermute_b32 v4, v11, v3
	s_wait_dscnt 0x0
	v_add_f32_e32 v3, v3, v4
	s_and_saveexec_b32 s3, s1
; %bb.12:                               ;   in Loop: Header=BB2_6 Depth=1
	ds_store_b32 v6, v3 offset:8192
; %bb.13:                               ;   in Loop: Header=BB2_6 Depth=1
	s_wait_alu 0xfffe
	s_or_b32 exec_lo, exec_lo, s3
	s_mov_b32 s7, 0
	s_mov_b32 s3, 0
	s_wait_loadcnt_dscnt 0x0
	s_barrier_signal -1
	s_barrier_wait -1
	global_inv scope:SCOPE_SE
                                        ; implicit-def: $vgpr4
	s_and_saveexec_b32 s10, s0
	s_wait_alu 0xfffe
	s_xor_b32 s10, exec_lo, s10
	s_cbranch_execz .LBB2_15
; %bb.14:                               ;   in Loop: Header=BB2_6 Depth=1
	ds_load_2addr_b32 v[16:17], v9 offset1:1
	ds_load_2addr_b32 v[18:19], v10 offset1:1
	ds_load_2addr_b32 v[20:21], v14 offset1:1
	ds_load_b32 v4, v7 offset:8220
	s_mov_b32 s3, exec_lo
	s_wait_dscnt 0x3
	v_add_f32_e32 v3, v3, v16
	s_delay_alu instid0(VALU_DEP_1) | instskip(SKIP_1) | instid1(VALU_DEP_1)
	v_add_f32_e32 v3, v3, v17
	s_wait_dscnt 0x2
	v_add_f32_e32 v3, v3, v18
	s_delay_alu instid0(VALU_DEP_1) | instskip(SKIP_1) | instid1(VALU_DEP_1)
	v_add_f32_e32 v3, v3, v19
	;; [unrolled: 4-line block ×3, first 2 shown]
	s_wait_dscnt 0x0
	v_add_f32_e32 v4, v3, v4
.LBB2_15:                               ;   in Loop: Header=BB2_6 Depth=1
	s_wait_alu 0xfffe
	s_or_b32 exec_lo, exec_lo, s10
	s_delay_alu instid0(SALU_CYCLE_1)
	s_and_b32 vcc_lo, exec_lo, s7
	s_wait_alu 0xfffe
	s_cbranch_vccnz .LBB2_18
.LBB2_16:                               ;   in Loop: Header=BB2_6 Depth=1
	v_mov_b32_e32 v15, v4
	s_wait_alu 0xfffe
	s_and_saveexec_b32 s7, s3
	s_cbranch_execnz .LBB2_19
	s_branch .LBB2_20
.LBB2_17:                               ;   in Loop: Header=BB2_6 Depth=1
	s_mov_b32 s3, 0
                                        ; implicit-def: $vgpr4
	s_cbranch_execz .LBB2_16
.LBB2_18:                               ;   in Loop: Header=BB2_6 Depth=1
	s_wait_alu 0xfffe
	s_and_not1_b32 s3, s3, exec_lo
	s_and_b32 s7, s0, exec_lo
	s_wait_alu 0xfffe
	s_or_b32 s3, s3, s7
	s_wait_alu 0xfffe
	s_and_saveexec_b32 s7, s3
.LBB2_19:                               ;   in Loop: Header=BB2_6 Depth=1
	ds_store_b32 v7, v15 offset:8192
.LBB2_20:                               ;   in Loop: Header=BB2_6 Depth=1
	s_or_b32 exec_lo, exec_lo, s7
	s_wait_loadcnt_dscnt 0x0
	s_barrier_signal -1
	s_barrier_wait -1
	global_inv scope:SCOPE_SE
	s_and_saveexec_b32 s7, s2
	s_cbranch_execz .LBB2_5
; %bb.21:                               ;   in Loop: Header=BB2_6 Depth=1
	global_load_b32 v3, v7, s[4:5]
	ds_load_b32 v4, v7 offset:8192
	s_mov_b32 s10, 0
	s_wait_loadcnt 0x0
	v_xor_b32_e32 v15, 0x80000000, v3
	s_wait_dscnt 0x0
	s_delay_alu instid0(VALU_DEP_1)
	v_dual_mov_b32 v3, v5 :: v_dual_mul_f32 v4, v4, v15
	v_mov_b32_e32 v15, v0
.LBB2_22:                               ;   Parent Loop BB2_6 Depth=1
                                        ; =>  This Inner Loop Header: Depth=2
	global_load_b32 v16, v[1:2], off
	ds_load_b32 v17, v3
	v_add_nc_u32_e32 v15, 0x100, v15
	s_wait_loadcnt_dscnt 0x0
	v_dual_fmac_f32 v16, v4, v17 :: v_dual_add_nc_u32 v3, 0x400, v3
	s_delay_alu instid0(VALU_DEP_2)
	v_cmp_le_i32_e32 vcc_lo, s12, v15
	global_store_b32 v[1:2], v16, off
	v_add_co_u32 v1, s3, 0x400, v1
	s_wait_alu 0xf1ff
	v_add_co_ci_u32_e64 v2, null, 0, v2, s3
	s_wait_alu 0xfffe
	s_or_b32 s10, vcc_lo, s10
	s_wait_alu 0xfffe
	s_and_not1_b32 exec_lo, exec_lo, s10
	s_cbranch_execnz .LBB2_22
	s_branch .LBB2_5
.LBB2_23:
	s_endpgm
	.section	.rodata,"a",@progbits
	.p2align	6, 0x0
	.amdhsa_kernel _ZN9rocsolver6v33100L22larf_left_kernel_smallILi256EfiPfEEvT1_S3_T2_lS3_lPKT0_lS4_lS3_l
		.amdhsa_group_segment_fixed_size 9216
		.amdhsa_private_segment_fixed_size 0
		.amdhsa_kernarg_size 88
		.amdhsa_user_sgpr_count 2
		.amdhsa_user_sgpr_dispatch_ptr 0
		.amdhsa_user_sgpr_queue_ptr 0
		.amdhsa_user_sgpr_kernarg_segment_ptr 1
		.amdhsa_user_sgpr_dispatch_id 0
		.amdhsa_user_sgpr_private_segment_size 0
		.amdhsa_wavefront_size32 1
		.amdhsa_uses_dynamic_stack 0
		.amdhsa_enable_private_segment 0
		.amdhsa_system_sgpr_workgroup_id_x 1
		.amdhsa_system_sgpr_workgroup_id_y 1
		.amdhsa_system_sgpr_workgroup_id_z 0
		.amdhsa_system_sgpr_workgroup_info 0
		.amdhsa_system_vgpr_workitem_id 0
		.amdhsa_next_free_vgpr 22
		.amdhsa_next_free_sgpr 26
		.amdhsa_reserve_vcc 1
		.amdhsa_float_round_mode_32 0
		.amdhsa_float_round_mode_16_64 0
		.amdhsa_float_denorm_mode_32 3
		.amdhsa_float_denorm_mode_16_64 3
		.amdhsa_fp16_overflow 0
		.amdhsa_workgroup_processor_mode 1
		.amdhsa_memory_ordered 1
		.amdhsa_forward_progress 1
		.amdhsa_inst_pref_size 11
		.amdhsa_round_robin_scheduling 0
		.amdhsa_exception_fp_ieee_invalid_op 0
		.amdhsa_exception_fp_denorm_src 0
		.amdhsa_exception_fp_ieee_div_zero 0
		.amdhsa_exception_fp_ieee_overflow 0
		.amdhsa_exception_fp_ieee_underflow 0
		.amdhsa_exception_fp_ieee_inexact 0
		.amdhsa_exception_int_div_zero 0
	.end_amdhsa_kernel
	.section	.text._ZN9rocsolver6v33100L22larf_left_kernel_smallILi256EfiPfEEvT1_S3_T2_lS3_lPKT0_lS4_lS3_l,"axG",@progbits,_ZN9rocsolver6v33100L22larf_left_kernel_smallILi256EfiPfEEvT1_S3_T2_lS3_lPKT0_lS4_lS3_l,comdat
.Lfunc_end2:
	.size	_ZN9rocsolver6v33100L22larf_left_kernel_smallILi256EfiPfEEvT1_S3_T2_lS3_lPKT0_lS4_lS3_l, .Lfunc_end2-_ZN9rocsolver6v33100L22larf_left_kernel_smallILi256EfiPfEEvT1_S3_T2_lS3_lPKT0_lS4_lS3_l
                                        ; -- End function
	.set _ZN9rocsolver6v33100L22larf_left_kernel_smallILi256EfiPfEEvT1_S3_T2_lS3_lPKT0_lS4_lS3_l.num_vgpr, 22
	.set _ZN9rocsolver6v33100L22larf_left_kernel_smallILi256EfiPfEEvT1_S3_T2_lS3_lPKT0_lS4_lS3_l.num_agpr, 0
	.set _ZN9rocsolver6v33100L22larf_left_kernel_smallILi256EfiPfEEvT1_S3_T2_lS3_lPKT0_lS4_lS3_l.numbered_sgpr, 26
	.set _ZN9rocsolver6v33100L22larf_left_kernel_smallILi256EfiPfEEvT1_S3_T2_lS3_lPKT0_lS4_lS3_l.num_named_barrier, 0
	.set _ZN9rocsolver6v33100L22larf_left_kernel_smallILi256EfiPfEEvT1_S3_T2_lS3_lPKT0_lS4_lS3_l.private_seg_size, 0
	.set _ZN9rocsolver6v33100L22larf_left_kernel_smallILi256EfiPfEEvT1_S3_T2_lS3_lPKT0_lS4_lS3_l.uses_vcc, 1
	.set _ZN9rocsolver6v33100L22larf_left_kernel_smallILi256EfiPfEEvT1_S3_T2_lS3_lPKT0_lS4_lS3_l.uses_flat_scratch, 0
	.set _ZN9rocsolver6v33100L22larf_left_kernel_smallILi256EfiPfEEvT1_S3_T2_lS3_lPKT0_lS4_lS3_l.has_dyn_sized_stack, 0
	.set _ZN9rocsolver6v33100L22larf_left_kernel_smallILi256EfiPfEEvT1_S3_T2_lS3_lPKT0_lS4_lS3_l.has_recursion, 0
	.set _ZN9rocsolver6v33100L22larf_left_kernel_smallILi256EfiPfEEvT1_S3_T2_lS3_lPKT0_lS4_lS3_l.has_indirect_call, 0
	.section	.AMDGPU.csdata,"",@progbits
; Kernel info:
; codeLenInByte = 1316
; TotalNumSgprs: 28
; NumVgprs: 22
; ScratchSize: 0
; MemoryBound: 0
; FloatMode: 240
; IeeeMode: 1
; LDSByteSize: 9216 bytes/workgroup (compile time only)
; SGPRBlocks: 0
; VGPRBlocks: 2
; NumSGPRsForWavesPerEU: 28
; NumVGPRsForWavesPerEU: 22
; Occupancy: 16
; WaveLimiterHint : 0
; COMPUTE_PGM_RSRC2:SCRATCH_EN: 0
; COMPUTE_PGM_RSRC2:USER_SGPR: 2
; COMPUTE_PGM_RSRC2:TRAP_HANDLER: 0
; COMPUTE_PGM_RSRC2:TGID_X_EN: 1
; COMPUTE_PGM_RSRC2:TGID_Y_EN: 1
; COMPUTE_PGM_RSRC2:TGID_Z_EN: 0
; COMPUTE_PGM_RSRC2:TIDIG_COMP_CNT: 0
	.section	.text._ZN9rocsolver6v33100L22larf_left_kernel_smallILi512EfiPfEEvT1_S3_T2_lS3_lPKT0_lS4_lS3_l,"axG",@progbits,_ZN9rocsolver6v33100L22larf_left_kernel_smallILi512EfiPfEEvT1_S3_T2_lS3_lPKT0_lS4_lS3_l,comdat
	.globl	_ZN9rocsolver6v33100L22larf_left_kernel_smallILi512EfiPfEEvT1_S3_T2_lS3_lPKT0_lS4_lS3_l ; -- Begin function _ZN9rocsolver6v33100L22larf_left_kernel_smallILi512EfiPfEEvT1_S3_T2_lS3_lPKT0_lS4_lS3_l
	.p2align	8
	.type	_ZN9rocsolver6v33100L22larf_left_kernel_smallILi512EfiPfEEvT1_S3_T2_lS3_lPKT0_lS4_lS3_l,@function
_ZN9rocsolver6v33100L22larf_left_kernel_smallILi512EfiPfEEvT1_S3_T2_lS3_lPKT0_lS4_lS3_l: ; @_ZN9rocsolver6v33100L22larf_left_kernel_smallILi512EfiPfEEvT1_S3_T2_lS3_lPKT0_lS4_lS3_l
; %bb.0:
	s_clause 0x2
	s_load_b64 s[12:13], s[0:1], 0x0
	s_load_b256 s[4:11], s[0:1], 0x20
	s_load_b64 s[16:17], s[0:1], 0x40
	v_lshlrev_b32_e32 v5, 2, v0
	s_mov_b32 s14, ttmp9
	s_ashr_i32 s15, ttmp9, 31
	s_wait_kmcnt 0x0
	v_cmp_gt_i32_e64 s2, s12, v0
	s_and_saveexec_b32 s3, s2
	s_cbranch_execz .LBB3_3
; %bb.1:
	s_clause 0x1
	s_load_b128 s[20:23], s[0:1], 0x8
	s_load_b32 s24, s[0:1], 0x18
	s_mul_u64 s[4:5], s[4:5], s[14:15]
	s_sub_co_i32 s25, 1, s12
	s_lshl_b64 s[4:5], s[4:5], 2
	v_dual_mov_b32 v4, v0 :: v_dual_lshlrev_b32 v3, 2, v0
	s_wait_kmcnt 0x0
	s_lshl_b64 s[18:19], s[22:23], 2
	s_mul_i32 s22, s24, s25
	s_cmp_lt_i32 s24, 1
	s_add_nc_u64 s[4:5], s[20:21], s[4:5]
	s_cselect_b32 s22, s22, 0
	s_add_nc_u64 s[4:5], s[4:5], s[18:19]
	v_mad_co_u64_u32 v[1:2], null, v0, s24, s[22:23]
	s_mov_b32 s18, 0
	s_lshl_b32 s19, s24, 9
.LBB3_2:                                ; =>This Inner Loop Header: Depth=1
	v_ashrrev_i32_e32 v2, 31, v1
	v_add_nc_u32_e32 v4, 0x200, v4
	s_delay_alu instid0(VALU_DEP_2) | instskip(SKIP_1) | instid1(VALU_DEP_2)
	v_lshlrev_b64_e32 v[6:7], 2, v[1:2]
	v_add_nc_u32_e32 v1, s19, v1
	v_add_co_u32 v6, vcc_lo, s4, v6
	s_wait_alu 0xfffd
	s_delay_alu instid0(VALU_DEP_3)
	v_add_co_ci_u32_e64 v7, null, s5, v7, vcc_lo
	v_cmp_le_i32_e32 vcc_lo, s12, v4
	global_load_b32 v2, v[6:7], off
	s_or_b32 s18, vcc_lo, s18
	s_wait_loadcnt 0x0
	ds_store_b32 v3, v2
	v_add_nc_u32_e32 v3, 0x800, v3
	s_wait_alu 0xfffe
	s_and_not1_b32 exec_lo, exec_lo, s18
	s_cbranch_execnz .LBB3_2
.LBB3_3:
	s_or_b32 exec_lo, exec_lo, s3
	s_cmp_ge_i32 ttmp7, s13
	s_wait_dscnt 0x0
	s_barrier_signal -1
	s_barrier_wait -1
	global_inv scope:SCOPE_SE
	s_cbranch_scc1 .LBB3_23
; %bb.4:
	s_clause 0x1
	s_load_b64 s[4:5], s[0:1], 0x50
	s_load_b32 s3, s[0:1], 0x48
	s_mul_u64 s[8:9], s[8:9], s[14:15]
	v_dual_mov_b32 v10, 0x200c :: v_dual_and_b32 v1, 31, v0
	s_lshl_b64 s[20:21], s[8:9], 2
	s_cmp_gt_i32 s12, 1
	v_mbcnt_lo_u32_b32 v8, -1, 0
	s_cselect_b32 s8, -1, 0
	v_lshrrev_b32_e32 v6, 3, v0
	v_cmp_eq_u32_e64 s0, 0, v0
	v_dual_mov_b32 v7, 0 :: v_dual_mov_b32 v12, 0x201c
	v_mov_b32_e32 v9, 0x2004
	v_mov_b32_e32 v11, 0x2014
	;; [unrolled: 1-line block ×4, first 2 shown]
	v_cmp_eq_u32_e64 s1, 0, v1
	v_lshl_or_b32 v15, v8, 2, 64
	v_mov_b32_e32 v18, 0x2034
	s_wait_kmcnt 0x0
	s_mul_u64 s[4:5], s[4:5], s[14:15]
	s_lshl_b64 s[14:15], s[16:17], 2
	s_wait_alu 0xfffe
	s_lshl_b64 s[4:5], s[4:5], 2
	s_mov_b32 s18, ttmp7
	s_wait_alu 0xfffe
	s_add_nc_u64 s[4:5], s[4:5], s[14:15]
	s_lshl_b32 s9, s3, 6
	s_wait_alu 0xfffe
	s_add_nc_u64 s[4:5], s[10:11], s[4:5]
	s_wait_alu 0xfffe
	v_add_co_u32 v16, s4, s4, v5
	s_wait_alu 0xf1ff
	v_add_co_ci_u32_e64 v17, null, s5, 0, s4
	s_add_nc_u64 s[4:5], s[6:7], s[20:21]
	s_mul_i32 s6, ttmp7, s3
	s_branch .LBB3_6
.LBB3_5:                                ;   in Loop: Header=BB3_6 Depth=1
	s_or_b32 exec_lo, exec_lo, s7
	s_add_co_i32 s18, s18, 64
	s_add_co_i32 s6, s6, s9
	s_wait_alu 0xfffe
	s_cmp_ge_i32 s18, s13
	s_cbranch_scc1 .LBB3_23
.LBB3_6:                                ; =>This Loop Header: Depth=1
                                        ;     Child Loop BB3_8 Depth 2
                                        ;     Child Loop BB3_22 Depth 2
	s_ashr_i32 s7, s6, 31
	v_mov_b32_e32 v19, 0
	s_lshl_b64 s[10:11], s[6:7], 2
	s_wait_alu 0xfffe
	v_add_co_u32 v1, vcc_lo, v16, s10
	s_wait_alu 0xfffd
	v_add_co_ci_u32_e64 v2, null, s11, v17, vcc_lo
	s_and_saveexec_b32 s7, s2
	s_cbranch_execz .LBB3_10
; %bb.7:                                ;   in Loop: Header=BB3_6 Depth=1
	v_dual_mov_b32 v19, 0 :: v_dual_mov_b32 v4, v2
	v_dual_mov_b32 v3, v1 :: v_dual_mov_b32 v20, v5
	v_mov_b32_e32 v21, v0
	s_mov_b32 s10, 0
.LBB3_8:                                ;   Parent Loop BB3_6 Depth=1
                                        ; =>  This Inner Loop Header: Depth=2
	global_load_b32 v22, v[3:4], off
	ds_load_b32 v23, v20
	v_add_nc_u32_e32 v21, 0x200, v21
	v_add_co_u32 v3, vcc_lo, 0x800, v3
	v_add_nc_u32_e32 v20, 0x800, v20
	s_wait_alu 0xfffd
	v_add_co_ci_u32_e64 v4, null, 0, v4, vcc_lo
	v_cmp_le_i32_e64 s3, s12, v21
	s_wait_alu 0xfffe
	s_or_b32 s10, s3, s10
	s_wait_loadcnt_dscnt 0x0
	v_fmac_f32_e32 v19, v23, v22
	s_wait_alu 0xfffe
	s_and_not1_b32 exec_lo, exec_lo, s10
	s_cbranch_execnz .LBB3_8
; %bb.9:                                ;   in Loop: Header=BB3_6 Depth=1
	s_or_b32 exec_lo, exec_lo, s10
.LBB3_10:                               ;   in Loop: Header=BB3_6 Depth=1
	s_delay_alu instid0(SALU_CYCLE_1) | instskip(NEXT) | instid1(SALU_CYCLE_1)
	s_or_b32 exec_lo, exec_lo, s7
	s_and_b32 vcc_lo, exec_lo, s8
	s_wait_alu 0xfffe
	s_cbranch_vccz .LBB3_17
; %bb.11:                               ;   in Loop: Header=BB3_6 Depth=1
	v_cmp_ne_u32_e32 vcc_lo, 31, v8
	s_wait_alu 0xfffd
	v_add_co_ci_u32_e64 v3, null, 0, v8, vcc_lo
	v_cmp_gt_u32_e32 vcc_lo, 30, v8
	s_delay_alu instid0(VALU_DEP_2)
	v_lshlrev_b32_e32 v3, 2, v3
	s_wait_alu 0xfffd
	v_cndmask_b32_e64 v4, 0, 2, vcc_lo
	v_cmp_gt_u32_e32 vcc_lo, 28, v8
	ds_bpermute_b32 v3, v3, v19
	v_add_lshl_u32 v4, v4, v8, 2
	s_wait_alu 0xfffd
	v_cndmask_b32_e64 v20, 0, 4, vcc_lo
	v_cmp_gt_u32_e32 vcc_lo, 24, v8
	s_delay_alu instid0(VALU_DEP_2)
	v_add_lshl_u32 v20, v20, v8, 2
	s_wait_dscnt 0x0
	v_add_f32_e32 v3, v19, v3
	ds_bpermute_b32 v4, v4, v3
	s_wait_dscnt 0x0
	v_add_f32_e32 v3, v3, v4
	ds_bpermute_b32 v4, v20, v3
	s_wait_alu 0xfffd
	v_cndmask_b32_e64 v20, 0, 8, vcc_lo
	s_wait_dscnt 0x0
	v_add_f32_e32 v3, v3, v4
	s_delay_alu instid0(VALU_DEP_2)
	v_add_lshl_u32 v4, v20, v8, 2
	ds_bpermute_b32 v4, v4, v3
	s_wait_dscnt 0x0
	v_add_f32_e32 v3, v3, v4
	ds_bpermute_b32 v4, v15, v3
	s_wait_dscnt 0x0
	v_add_f32_e32 v3, v3, v4
	s_and_saveexec_b32 s3, s1
; %bb.12:                               ;   in Loop: Header=BB3_6 Depth=1
	ds_store_b32 v6, v3 offset:8192
; %bb.13:                               ;   in Loop: Header=BB3_6 Depth=1
	s_wait_alu 0xfffe
	s_or_b32 exec_lo, exec_lo, s3
	s_mov_b32 s7, 0
	s_mov_b32 s3, 0
	s_wait_loadcnt_dscnt 0x0
	s_barrier_signal -1
	s_barrier_wait -1
	global_inv scope:SCOPE_SE
                                        ; implicit-def: $vgpr4
	s_and_saveexec_b32 s10, s0
	s_wait_alu 0xfffe
	s_xor_b32 s10, exec_lo, s10
	s_cbranch_execz .LBB3_15
; %bb.14:                               ;   in Loop: Header=BB3_6 Depth=1
	ds_load_2addr_b32 v[20:21], v9 offset1:1
	ds_load_2addr_b32 v[22:23], v10 offset1:1
	;; [unrolled: 1-line block ×4, first 2 shown]
	s_mov_b32 s3, exec_lo
	s_wait_dscnt 0x3
	v_add_f32_e32 v3, v3, v20
	s_delay_alu instid0(VALU_DEP_1) | instskip(SKIP_1) | instid1(VALU_DEP_1)
	v_add_f32_e32 v3, v3, v21
	s_wait_dscnt 0x2
	v_add_f32_e32 v3, v3, v22
	s_delay_alu instid0(VALU_DEP_1) | instskip(SKIP_1) | instid1(VALU_DEP_1)
	v_add_f32_e32 v3, v3, v23
	s_wait_dscnt 0x1
	v_add_f32_e32 v20, v3, v24
	ds_load_2addr_b32 v[3:4], v13 offset1:1
	v_add_f32_e32 v20, v20, v25
	s_wait_dscnt 0x1
	s_delay_alu instid0(VALU_DEP_1)
	v_add_f32_e32 v22, v20, v26
	ds_load_2addr_b32 v[20:21], v14 offset1:1
	v_add_f32_e32 v24, v22, v27
	ds_load_2addr_b32 v[22:23], v18 offset1:1
	ds_load_b32 v25, v7 offset:8252
	s_wait_dscnt 0x3
	v_add_f32_e32 v3, v24, v3
	s_delay_alu instid0(VALU_DEP_1) | instskip(SKIP_1) | instid1(VALU_DEP_1)
	v_add_f32_e32 v3, v3, v4
	s_wait_dscnt 0x2
	v_add_f32_e32 v3, v3, v20
	s_delay_alu instid0(VALU_DEP_1) | instskip(SKIP_1) | instid1(VALU_DEP_1)
	v_add_f32_e32 v3, v3, v21
	;; [unrolled: 4-line block ×3, first 2 shown]
	s_wait_dscnt 0x0
	v_add_f32_e32 v4, v3, v25
.LBB3_15:                               ;   in Loop: Header=BB3_6 Depth=1
	s_wait_alu 0xfffe
	s_or_b32 exec_lo, exec_lo, s10
	s_delay_alu instid0(SALU_CYCLE_1)
	s_and_b32 vcc_lo, exec_lo, s7
	s_wait_alu 0xfffe
	s_cbranch_vccnz .LBB3_18
.LBB3_16:                               ;   in Loop: Header=BB3_6 Depth=1
	v_mov_b32_e32 v19, v4
	s_wait_alu 0xfffe
	s_and_saveexec_b32 s7, s3
	s_cbranch_execnz .LBB3_19
	s_branch .LBB3_20
.LBB3_17:                               ;   in Loop: Header=BB3_6 Depth=1
	s_mov_b32 s3, 0
                                        ; implicit-def: $vgpr4
	s_cbranch_execz .LBB3_16
.LBB3_18:                               ;   in Loop: Header=BB3_6 Depth=1
	s_wait_alu 0xfffe
	s_and_not1_b32 s3, s3, exec_lo
	s_and_b32 s7, s0, exec_lo
	s_wait_alu 0xfffe
	s_or_b32 s3, s3, s7
	s_wait_alu 0xfffe
	s_and_saveexec_b32 s7, s3
.LBB3_19:                               ;   in Loop: Header=BB3_6 Depth=1
	ds_store_b32 v7, v19 offset:8192
.LBB3_20:                               ;   in Loop: Header=BB3_6 Depth=1
	s_or_b32 exec_lo, exec_lo, s7
	s_wait_loadcnt_dscnt 0x0
	s_barrier_signal -1
	s_barrier_wait -1
	global_inv scope:SCOPE_SE
	s_and_saveexec_b32 s7, s2
	s_cbranch_execz .LBB3_5
; %bb.21:                               ;   in Loop: Header=BB3_6 Depth=1
	global_load_b32 v3, v7, s[4:5]
	ds_load_b32 v4, v7 offset:8192
	s_mov_b32 s10, 0
	s_wait_loadcnt 0x0
	v_xor_b32_e32 v19, 0x80000000, v3
	s_wait_dscnt 0x0
	s_delay_alu instid0(VALU_DEP_1)
	v_dual_mov_b32 v3, v5 :: v_dual_mul_f32 v4, v4, v19
	v_mov_b32_e32 v19, v0
.LBB3_22:                               ;   Parent Loop BB3_6 Depth=1
                                        ; =>  This Inner Loop Header: Depth=2
	global_load_b32 v20, v[1:2], off
	ds_load_b32 v21, v3
	v_add_nc_u32_e32 v19, 0x200, v19
	s_wait_loadcnt_dscnt 0x0
	v_dual_fmac_f32 v20, v4, v21 :: v_dual_add_nc_u32 v3, 0x800, v3
	s_delay_alu instid0(VALU_DEP_2)
	v_cmp_le_i32_e32 vcc_lo, s12, v19
	global_store_b32 v[1:2], v20, off
	v_add_co_u32 v1, s3, 0x800, v1
	s_wait_alu 0xf1ff
	v_add_co_ci_u32_e64 v2, null, 0, v2, s3
	s_wait_alu 0xfffe
	s_or_b32 s10, vcc_lo, s10
	s_wait_alu 0xfffe
	s_and_not1_b32 exec_lo, exec_lo, s10
	s_cbranch_execnz .LBB3_22
	s_branch .LBB3_5
.LBB3_23:
	s_endpgm
	.section	.rodata,"a",@progbits
	.p2align	6, 0x0
	.amdhsa_kernel _ZN9rocsolver6v33100L22larf_left_kernel_smallILi512EfiPfEEvT1_S3_T2_lS3_lPKT0_lS4_lS3_l
		.amdhsa_group_segment_fixed_size 10240
		.amdhsa_private_segment_fixed_size 0
		.amdhsa_kernarg_size 88
		.amdhsa_user_sgpr_count 2
		.amdhsa_user_sgpr_dispatch_ptr 0
		.amdhsa_user_sgpr_queue_ptr 0
		.amdhsa_user_sgpr_kernarg_segment_ptr 1
		.amdhsa_user_sgpr_dispatch_id 0
		.amdhsa_user_sgpr_private_segment_size 0
		.amdhsa_wavefront_size32 1
		.amdhsa_uses_dynamic_stack 0
		.amdhsa_enable_private_segment 0
		.amdhsa_system_sgpr_workgroup_id_x 1
		.amdhsa_system_sgpr_workgroup_id_y 1
		.amdhsa_system_sgpr_workgroup_id_z 0
		.amdhsa_system_sgpr_workgroup_info 0
		.amdhsa_system_vgpr_workitem_id 0
		.amdhsa_next_free_vgpr 28
		.amdhsa_next_free_sgpr 26
		.amdhsa_reserve_vcc 1
		.amdhsa_float_round_mode_32 0
		.amdhsa_float_round_mode_16_64 0
		.amdhsa_float_denorm_mode_32 3
		.amdhsa_float_denorm_mode_16_64 3
		.amdhsa_fp16_overflow 0
		.amdhsa_workgroup_processor_mode 1
		.amdhsa_memory_ordered 1
		.amdhsa_forward_progress 1
		.amdhsa_inst_pref_size 12
		.amdhsa_round_robin_scheduling 0
		.amdhsa_exception_fp_ieee_invalid_op 0
		.amdhsa_exception_fp_denorm_src 0
		.amdhsa_exception_fp_ieee_div_zero 0
		.amdhsa_exception_fp_ieee_overflow 0
		.amdhsa_exception_fp_ieee_underflow 0
		.amdhsa_exception_fp_ieee_inexact 0
		.amdhsa_exception_int_div_zero 0
	.end_amdhsa_kernel
	.section	.text._ZN9rocsolver6v33100L22larf_left_kernel_smallILi512EfiPfEEvT1_S3_T2_lS3_lPKT0_lS4_lS3_l,"axG",@progbits,_ZN9rocsolver6v33100L22larf_left_kernel_smallILi512EfiPfEEvT1_S3_T2_lS3_lPKT0_lS4_lS3_l,comdat
.Lfunc_end3:
	.size	_ZN9rocsolver6v33100L22larf_left_kernel_smallILi512EfiPfEEvT1_S3_T2_lS3_lPKT0_lS4_lS3_l, .Lfunc_end3-_ZN9rocsolver6v33100L22larf_left_kernel_smallILi512EfiPfEEvT1_S3_T2_lS3_lPKT0_lS4_lS3_l
                                        ; -- End function
	.set _ZN9rocsolver6v33100L22larf_left_kernel_smallILi512EfiPfEEvT1_S3_T2_lS3_lPKT0_lS4_lS3_l.num_vgpr, 28
	.set _ZN9rocsolver6v33100L22larf_left_kernel_smallILi512EfiPfEEvT1_S3_T2_lS3_lPKT0_lS4_lS3_l.num_agpr, 0
	.set _ZN9rocsolver6v33100L22larf_left_kernel_smallILi512EfiPfEEvT1_S3_T2_lS3_lPKT0_lS4_lS3_l.numbered_sgpr, 26
	.set _ZN9rocsolver6v33100L22larf_left_kernel_smallILi512EfiPfEEvT1_S3_T2_lS3_lPKT0_lS4_lS3_l.num_named_barrier, 0
	.set _ZN9rocsolver6v33100L22larf_left_kernel_smallILi512EfiPfEEvT1_S3_T2_lS3_lPKT0_lS4_lS3_l.private_seg_size, 0
	.set _ZN9rocsolver6v33100L22larf_left_kernel_smallILi512EfiPfEEvT1_S3_T2_lS3_lPKT0_lS4_lS3_l.uses_vcc, 1
	.set _ZN9rocsolver6v33100L22larf_left_kernel_smallILi512EfiPfEEvT1_S3_T2_lS3_lPKT0_lS4_lS3_l.uses_flat_scratch, 0
	.set _ZN9rocsolver6v33100L22larf_left_kernel_smallILi512EfiPfEEvT1_S3_T2_lS3_lPKT0_lS4_lS3_l.has_dyn_sized_stack, 0
	.set _ZN9rocsolver6v33100L22larf_left_kernel_smallILi512EfiPfEEvT1_S3_T2_lS3_lPKT0_lS4_lS3_l.has_recursion, 0
	.set _ZN9rocsolver6v33100L22larf_left_kernel_smallILi512EfiPfEEvT1_S3_T2_lS3_lPKT0_lS4_lS3_l.has_indirect_call, 0
	.section	.AMDGPU.csdata,"",@progbits
; Kernel info:
; codeLenInByte = 1440
; TotalNumSgprs: 28
; NumVgprs: 28
; ScratchSize: 0
; MemoryBound: 0
; FloatMode: 240
; IeeeMode: 1
; LDSByteSize: 10240 bytes/workgroup (compile time only)
; SGPRBlocks: 0
; VGPRBlocks: 3
; NumSGPRsForWavesPerEU: 28
; NumVGPRsForWavesPerEU: 28
; Occupancy: 16
; WaveLimiterHint : 0
; COMPUTE_PGM_RSRC2:SCRATCH_EN: 0
; COMPUTE_PGM_RSRC2:USER_SGPR: 2
; COMPUTE_PGM_RSRC2:TRAP_HANDLER: 0
; COMPUTE_PGM_RSRC2:TGID_X_EN: 1
; COMPUTE_PGM_RSRC2:TGID_Y_EN: 1
; COMPUTE_PGM_RSRC2:TGID_Z_EN: 0
; COMPUTE_PGM_RSRC2:TIDIG_COMP_CNT: 0
	.section	.text._ZN9rocsolver6v33100L22larf_left_kernel_smallILi1024EfiPfEEvT1_S3_T2_lS3_lPKT0_lS4_lS3_l,"axG",@progbits,_ZN9rocsolver6v33100L22larf_left_kernel_smallILi1024EfiPfEEvT1_S3_T2_lS3_lPKT0_lS4_lS3_l,comdat
	.globl	_ZN9rocsolver6v33100L22larf_left_kernel_smallILi1024EfiPfEEvT1_S3_T2_lS3_lPKT0_lS4_lS3_l ; -- Begin function _ZN9rocsolver6v33100L22larf_left_kernel_smallILi1024EfiPfEEvT1_S3_T2_lS3_lPKT0_lS4_lS3_l
	.p2align	8
	.type	_ZN9rocsolver6v33100L22larf_left_kernel_smallILi1024EfiPfEEvT1_S3_T2_lS3_lPKT0_lS4_lS3_l,@function
_ZN9rocsolver6v33100L22larf_left_kernel_smallILi1024EfiPfEEvT1_S3_T2_lS3_lPKT0_lS4_lS3_l: ; @_ZN9rocsolver6v33100L22larf_left_kernel_smallILi1024EfiPfEEvT1_S3_T2_lS3_lPKT0_lS4_lS3_l
; %bb.0:
	s_clause 0x2
	s_load_b64 s[12:13], s[0:1], 0x0
	s_load_b256 s[4:11], s[0:1], 0x20
	s_load_b64 s[16:17], s[0:1], 0x40
	v_lshlrev_b32_e32 v5, 2, v0
	s_mov_b32 s14, ttmp9
	s_ashr_i32 s15, ttmp9, 31
	s_wait_kmcnt 0x0
	v_cmp_gt_i32_e64 s2, s12, v0
	s_and_saveexec_b32 s3, s2
	s_cbranch_execz .LBB4_3
; %bb.1:
	s_clause 0x1
	s_load_b128 s[20:23], s[0:1], 0x8
	s_load_b32 s24, s[0:1], 0x18
	s_mul_u64 s[4:5], s[4:5], s[14:15]
	s_sub_co_i32 s25, 1, s12
	s_lshl_b64 s[4:5], s[4:5], 2
	v_dual_mov_b32 v4, v0 :: v_dual_lshlrev_b32 v3, 2, v0
	s_wait_kmcnt 0x0
	s_lshl_b64 s[18:19], s[22:23], 2
	s_mul_i32 s22, s24, s25
	s_cmp_lt_i32 s24, 1
	s_add_nc_u64 s[4:5], s[20:21], s[4:5]
	s_cselect_b32 s22, s22, 0
	s_add_nc_u64 s[4:5], s[4:5], s[18:19]
	v_mad_co_u64_u32 v[1:2], null, v0, s24, s[22:23]
	s_mov_b32 s18, 0
	s_lshl_b32 s19, s24, 10
.LBB4_2:                                ; =>This Inner Loop Header: Depth=1
	v_ashrrev_i32_e32 v2, 31, v1
	v_add_nc_u32_e32 v4, 0x400, v4
	s_delay_alu instid0(VALU_DEP_2) | instskip(SKIP_1) | instid1(VALU_DEP_2)
	v_lshlrev_b64_e32 v[6:7], 2, v[1:2]
	v_add_nc_u32_e32 v1, s19, v1
	v_add_co_u32 v6, vcc_lo, s4, v6
	s_wait_alu 0xfffd
	s_delay_alu instid0(VALU_DEP_3)
	v_add_co_ci_u32_e64 v7, null, s5, v7, vcc_lo
	v_cmp_le_i32_e32 vcc_lo, s12, v4
	global_load_b32 v2, v[6:7], off
	s_or_b32 s18, vcc_lo, s18
	s_wait_loadcnt 0x0
	ds_store_b32 v3, v2
	v_add_nc_u32_e32 v3, 0x1000, v3
	s_wait_alu 0xfffe
	s_and_not1_b32 exec_lo, exec_lo, s18
	s_cbranch_execnz .LBB4_2
.LBB4_3:
	s_or_b32 exec_lo, exec_lo, s3
	s_cmp_ge_i32 ttmp7, s13
	s_wait_dscnt 0x0
	s_barrier_signal -1
	s_barrier_wait -1
	global_inv scope:SCOPE_SE
	s_cbranch_scc1 .LBB4_23
; %bb.4:
	s_clause 0x1
	s_load_b64 s[4:5], s[0:1], 0x50
	s_load_b32 s3, s[0:1], 0x48
	s_mul_u64 s[8:9], s[8:9], s[14:15]
	v_dual_mov_b32 v10, 0x200c :: v_dual_and_b32 v1, 31, v0
	s_lshl_b64 s[20:21], s[8:9], 2
	s_cmp_gt_i32 s12, 1
	v_mbcnt_lo_u32_b32 v8, -1, 0
	s_cselect_b32 s8, -1, 0
	v_lshrrev_b32_e32 v6, 3, v0
	v_cmp_eq_u32_e64 s0, 0, v0
	v_dual_mov_b32 v7, 0 :: v_dual_mov_b32 v12, 0x201c
	v_mov_b32_e32 v9, 0x2004
	v_mov_b32_e32 v11, 0x2014
	;; [unrolled: 1-line block ×4, first 2 shown]
	v_cmp_eq_u32_e64 s1, 0, v1
	v_lshl_or_b32 v15, v8, 2, 64
	v_mov_b32_e32 v18, 0x2034
	s_wait_kmcnt 0x0
	s_mul_u64 s[4:5], s[4:5], s[14:15]
	s_lshl_b64 s[14:15], s[16:17], 2
	s_wait_alu 0xfffe
	s_lshl_b64 s[4:5], s[4:5], 2
	v_mov_b32_e32 v19, 0x203c
	s_wait_alu 0xfffe
	s_add_nc_u64 s[4:5], s[4:5], s[14:15]
	v_mov_b32_e32 v20, 0x2044
	s_wait_alu 0xfffe
	s_add_nc_u64 s[4:5], s[10:11], s[4:5]
	v_mov_b32_e32 v21, 0x204c
	s_wait_alu 0xfffe
	v_add_co_u32 v16, s4, s4, v5
	s_wait_alu 0xf1ff
	v_add_co_ci_u32_e64 v17, null, s5, 0, s4
	v_mov_b32_e32 v22, 0x2054
	v_mov_b32_e32 v23, 0x205c
	;; [unrolled: 1-line block ×5, first 2 shown]
	s_mov_b32 s18, ttmp7
	s_add_nc_u64 s[4:5], s[6:7], s[20:21]
	s_mul_i32 s6, ttmp7, s3
	s_lshl_b32 s9, s3, 6
	s_branch .LBB4_6
.LBB4_5:                                ;   in Loop: Header=BB4_6 Depth=1
	s_or_b32 exec_lo, exec_lo, s7
	s_add_co_i32 s18, s18, 64
	s_add_co_i32 s6, s6, s9
	s_wait_alu 0xfffe
	s_cmp_ge_i32 s18, s13
	s_cbranch_scc1 .LBB4_23
.LBB4_6:                                ; =>This Loop Header: Depth=1
                                        ;     Child Loop BB4_8 Depth 2
                                        ;     Child Loop BB4_22 Depth 2
	s_ashr_i32 s7, s6, 31
	v_mov_b32_e32 v27, 0
	s_lshl_b64 s[10:11], s[6:7], 2
	s_wait_alu 0xfffe
	v_add_co_u32 v1, vcc_lo, v16, s10
	s_wait_alu 0xfffd
	v_add_co_ci_u32_e64 v2, null, s11, v17, vcc_lo
	s_and_saveexec_b32 s7, s2
	s_cbranch_execz .LBB4_10
; %bb.7:                                ;   in Loop: Header=BB4_6 Depth=1
	v_dual_mov_b32 v27, 0 :: v_dual_mov_b32 v4, v2
	v_dual_mov_b32 v3, v1 :: v_dual_mov_b32 v28, v5
	v_mov_b32_e32 v29, v0
	s_mov_b32 s10, 0
.LBB4_8:                                ;   Parent Loop BB4_6 Depth=1
                                        ; =>  This Inner Loop Header: Depth=2
	global_load_b32 v30, v[3:4], off
	ds_load_b32 v31, v28
	v_add_nc_u32_e32 v29, 0x400, v29
	v_add_co_u32 v3, vcc_lo, 0x1000, v3
	v_add_nc_u32_e32 v28, 0x1000, v28
	s_wait_alu 0xfffd
	v_add_co_ci_u32_e64 v4, null, 0, v4, vcc_lo
	v_cmp_le_i32_e64 s3, s12, v29
	s_wait_alu 0xfffe
	s_or_b32 s10, s3, s10
	s_wait_loadcnt_dscnt 0x0
	v_fmac_f32_e32 v27, v31, v30
	s_wait_alu 0xfffe
	s_and_not1_b32 exec_lo, exec_lo, s10
	s_cbranch_execnz .LBB4_8
; %bb.9:                                ;   in Loop: Header=BB4_6 Depth=1
	s_or_b32 exec_lo, exec_lo, s10
.LBB4_10:                               ;   in Loop: Header=BB4_6 Depth=1
	s_delay_alu instid0(SALU_CYCLE_1) | instskip(NEXT) | instid1(SALU_CYCLE_1)
	s_or_b32 exec_lo, exec_lo, s7
	s_and_b32 vcc_lo, exec_lo, s8
	s_wait_alu 0xfffe
	s_cbranch_vccz .LBB4_17
; %bb.11:                               ;   in Loop: Header=BB4_6 Depth=1
	v_cmp_ne_u32_e32 vcc_lo, 31, v8
	s_wait_alu 0xfffd
	v_add_co_ci_u32_e64 v3, null, 0, v8, vcc_lo
	v_cmp_gt_u32_e32 vcc_lo, 30, v8
	s_delay_alu instid0(VALU_DEP_2)
	v_lshlrev_b32_e32 v3, 2, v3
	s_wait_alu 0xfffd
	v_cndmask_b32_e64 v4, 0, 2, vcc_lo
	v_cmp_gt_u32_e32 vcc_lo, 28, v8
	ds_bpermute_b32 v3, v3, v27
	v_add_lshl_u32 v4, v4, v8, 2
	s_wait_alu 0xfffd
	v_cndmask_b32_e64 v28, 0, 4, vcc_lo
	v_cmp_gt_u32_e32 vcc_lo, 24, v8
	s_delay_alu instid0(VALU_DEP_2)
	v_add_lshl_u32 v28, v28, v8, 2
	s_wait_dscnt 0x0
	v_add_f32_e32 v3, v27, v3
	ds_bpermute_b32 v4, v4, v3
	s_wait_dscnt 0x0
	v_add_f32_e32 v3, v3, v4
	ds_bpermute_b32 v4, v28, v3
	s_wait_alu 0xfffd
	v_cndmask_b32_e64 v28, 0, 8, vcc_lo
	s_wait_dscnt 0x0
	v_add_f32_e32 v3, v3, v4
	s_delay_alu instid0(VALU_DEP_2)
	v_add_lshl_u32 v4, v28, v8, 2
	ds_bpermute_b32 v4, v4, v3
	s_wait_dscnt 0x0
	v_add_f32_e32 v3, v3, v4
	ds_bpermute_b32 v4, v15, v3
	s_wait_dscnt 0x0
	v_add_f32_e32 v3, v3, v4
	s_and_saveexec_b32 s3, s1
; %bb.12:                               ;   in Loop: Header=BB4_6 Depth=1
	ds_store_b32 v6, v3 offset:8192
; %bb.13:                               ;   in Loop: Header=BB4_6 Depth=1
	s_wait_alu 0xfffe
	s_or_b32 exec_lo, exec_lo, s3
	s_mov_b32 s7, 0
	s_mov_b32 s3, 0
	s_wait_loadcnt_dscnt 0x0
	s_barrier_signal -1
	s_barrier_wait -1
	global_inv scope:SCOPE_SE
                                        ; implicit-def: $vgpr4
	s_and_saveexec_b32 s10, s0
	s_wait_alu 0xfffe
	s_xor_b32 s10, exec_lo, s10
	s_cbranch_execz .LBB4_15
; %bb.14:                               ;   in Loop: Header=BB4_6 Depth=1
	ds_load_2addr_b32 v[28:29], v9 offset1:1
	ds_load_2addr_b32 v[30:31], v10 offset1:1
	;; [unrolled: 1-line block ×4, first 2 shown]
	s_mov_b32 s3, exec_lo
	s_wait_dscnt 0x3
	v_add_f32_e32 v3, v3, v28
	s_delay_alu instid0(VALU_DEP_1) | instskip(SKIP_1) | instid1(VALU_DEP_1)
	v_add_f32_e32 v3, v3, v29
	s_wait_dscnt 0x2
	v_add_f32_e32 v3, v3, v30
	s_delay_alu instid0(VALU_DEP_1) | instskip(SKIP_3) | instid1(VALU_DEP_1)
	v_add_f32_e32 v28, v3, v31
	ds_load_2addr_b32 v[3:4], v13 offset1:1
	s_wait_dscnt 0x2
	v_add_f32_e32 v28, v28, v32
	v_add_f32_e32 v30, v28, v33
	ds_load_2addr_b32 v[28:29], v14 offset1:1
	s_wait_dscnt 0x2
	v_add_f32_e32 v30, v30, v34
	s_delay_alu instid0(VALU_DEP_1) | instskip(SKIP_4) | instid1(VALU_DEP_1)
	v_add_f32_e32 v34, v30, v35
	ds_load_2addr_b32 v[30:31], v18 offset1:1
	ds_load_2addr_b32 v[32:33], v19 offset1:1
	s_wait_dscnt 0x3
	v_add_f32_e32 v3, v34, v3
	v_add_f32_e32 v3, v3, v4
	s_wait_dscnt 0x2
	s_delay_alu instid0(VALU_DEP_1) | instskip(NEXT) | instid1(VALU_DEP_1)
	v_add_f32_e32 v3, v3, v28
	v_add_f32_e32 v28, v3, v29
	ds_load_2addr_b32 v[3:4], v20 offset1:1
	s_wait_dscnt 0x2
	v_add_f32_e32 v28, v28, v30
	s_delay_alu instid0(VALU_DEP_1) | instskip(SKIP_3) | instid1(VALU_DEP_1)
	v_add_f32_e32 v30, v28, v31
	ds_load_2addr_b32 v[28:29], v21 offset1:1
	s_wait_dscnt 0x2
	v_add_f32_e32 v30, v30, v32
	v_add_f32_e32 v34, v30, v33
	ds_load_2addr_b32 v[30:31], v22 offset1:1
	ds_load_2addr_b32 v[32:33], v23 offset1:1
	s_wait_dscnt 0x3
	v_add_f32_e32 v3, v34, v3
	s_delay_alu instid0(VALU_DEP_1) | instskip(SKIP_1) | instid1(VALU_DEP_1)
	v_add_f32_e32 v3, v3, v4
	s_wait_dscnt 0x2
	v_add_f32_e32 v3, v3, v28
	s_delay_alu instid0(VALU_DEP_1) | instskip(SKIP_1) | instid1(VALU_DEP_1)
	v_add_f32_e32 v3, v3, v29
	s_wait_dscnt 0x1
	v_add_f32_e32 v28, v3, v30
	ds_load_2addr_b32 v[3:4], v24 offset1:1
	v_add_f32_e32 v28, v28, v31
	s_wait_dscnt 0x1
	s_delay_alu instid0(VALU_DEP_1)
	v_add_f32_e32 v30, v28, v32
	ds_load_2addr_b32 v[28:29], v25 offset1:1
	v_add_f32_e32 v32, v30, v33
	ds_load_2addr_b32 v[30:31], v26 offset1:1
	ds_load_b32 v33, v7 offset:8316
	s_wait_dscnt 0x3
	v_add_f32_e32 v3, v32, v3
	s_delay_alu instid0(VALU_DEP_1) | instskip(SKIP_1) | instid1(VALU_DEP_1)
	v_add_f32_e32 v3, v3, v4
	s_wait_dscnt 0x2
	v_add_f32_e32 v3, v3, v28
	s_delay_alu instid0(VALU_DEP_1) | instskip(SKIP_1) | instid1(VALU_DEP_1)
	v_add_f32_e32 v3, v3, v29
	;; [unrolled: 4-line block ×3, first 2 shown]
	s_wait_dscnt 0x0
	v_add_f32_e32 v4, v3, v33
.LBB4_15:                               ;   in Loop: Header=BB4_6 Depth=1
	s_wait_alu 0xfffe
	s_or_b32 exec_lo, exec_lo, s10
	s_delay_alu instid0(SALU_CYCLE_1)
	s_and_b32 vcc_lo, exec_lo, s7
	s_wait_alu 0xfffe
	s_cbranch_vccnz .LBB4_18
.LBB4_16:                               ;   in Loop: Header=BB4_6 Depth=1
	v_mov_b32_e32 v27, v4
	s_wait_alu 0xfffe
	s_and_saveexec_b32 s7, s3
	s_cbranch_execnz .LBB4_19
	s_branch .LBB4_20
.LBB4_17:                               ;   in Loop: Header=BB4_6 Depth=1
	s_mov_b32 s3, 0
                                        ; implicit-def: $vgpr4
	s_cbranch_execz .LBB4_16
.LBB4_18:                               ;   in Loop: Header=BB4_6 Depth=1
	s_wait_alu 0xfffe
	s_and_not1_b32 s3, s3, exec_lo
	s_and_b32 s7, s0, exec_lo
	s_wait_alu 0xfffe
	s_or_b32 s3, s3, s7
	s_wait_alu 0xfffe
	s_and_saveexec_b32 s7, s3
.LBB4_19:                               ;   in Loop: Header=BB4_6 Depth=1
	ds_store_b32 v7, v27 offset:8192
.LBB4_20:                               ;   in Loop: Header=BB4_6 Depth=1
	s_or_b32 exec_lo, exec_lo, s7
	s_wait_loadcnt_dscnt 0x0
	s_barrier_signal -1
	s_barrier_wait -1
	global_inv scope:SCOPE_SE
	s_and_saveexec_b32 s7, s2
	s_cbranch_execz .LBB4_5
; %bb.21:                               ;   in Loop: Header=BB4_6 Depth=1
	global_load_b32 v3, v7, s[4:5]
	ds_load_b32 v4, v7 offset:8192
	s_mov_b32 s10, 0
	s_wait_loadcnt 0x0
	v_xor_b32_e32 v27, 0x80000000, v3
	s_wait_dscnt 0x0
	s_delay_alu instid0(VALU_DEP_1)
	v_dual_mov_b32 v3, v5 :: v_dual_mul_f32 v4, v4, v27
	v_mov_b32_e32 v27, v0
.LBB4_22:                               ;   Parent Loop BB4_6 Depth=1
                                        ; =>  This Inner Loop Header: Depth=2
	global_load_b32 v28, v[1:2], off
	ds_load_b32 v29, v3
	v_add_nc_u32_e32 v27, 0x400, v27
	s_wait_loadcnt_dscnt 0x0
	v_dual_fmac_f32 v28, v4, v29 :: v_dual_add_nc_u32 v3, 0x1000, v3
	s_delay_alu instid0(VALU_DEP_2)
	v_cmp_le_i32_e32 vcc_lo, s12, v27
	global_store_b32 v[1:2], v28, off
	v_add_co_u32 v1, s3, 0x1000, v1
	s_wait_alu 0xf1ff
	v_add_co_ci_u32_e64 v2, null, 0, v2, s3
	s_wait_alu 0xfffe
	s_or_b32 s10, vcc_lo, s10
	s_wait_alu 0xfffe
	s_and_not1_b32 exec_lo, exec_lo, s10
	s_cbranch_execnz .LBB4_22
	s_branch .LBB4_5
.LBB4_23:
	s_endpgm
	.section	.rodata,"a",@progbits
	.p2align	6, 0x0
	.amdhsa_kernel _ZN9rocsolver6v33100L22larf_left_kernel_smallILi1024EfiPfEEvT1_S3_T2_lS3_lPKT0_lS4_lS3_l
		.amdhsa_group_segment_fixed_size 12288
		.amdhsa_private_segment_fixed_size 0
		.amdhsa_kernarg_size 88
		.amdhsa_user_sgpr_count 2
		.amdhsa_user_sgpr_dispatch_ptr 0
		.amdhsa_user_sgpr_queue_ptr 0
		.amdhsa_user_sgpr_kernarg_segment_ptr 1
		.amdhsa_user_sgpr_dispatch_id 0
		.amdhsa_user_sgpr_private_segment_size 0
		.amdhsa_wavefront_size32 1
		.amdhsa_uses_dynamic_stack 0
		.amdhsa_enable_private_segment 0
		.amdhsa_system_sgpr_workgroup_id_x 1
		.amdhsa_system_sgpr_workgroup_id_y 1
		.amdhsa_system_sgpr_workgroup_id_z 0
		.amdhsa_system_sgpr_workgroup_info 0
		.amdhsa_system_vgpr_workitem_id 0
		.amdhsa_next_free_vgpr 36
		.amdhsa_next_free_sgpr 26
		.amdhsa_reserve_vcc 1
		.amdhsa_float_round_mode_32 0
		.amdhsa_float_round_mode_16_64 0
		.amdhsa_float_denorm_mode_32 3
		.amdhsa_float_denorm_mode_16_64 3
		.amdhsa_fp16_overflow 0
		.amdhsa_workgroup_processor_mode 1
		.amdhsa_memory_ordered 1
		.amdhsa_forward_progress 1
		.amdhsa_inst_pref_size 14
		.amdhsa_round_robin_scheduling 0
		.amdhsa_exception_fp_ieee_invalid_op 0
		.amdhsa_exception_fp_denorm_src 0
		.amdhsa_exception_fp_ieee_div_zero 0
		.amdhsa_exception_fp_ieee_overflow 0
		.amdhsa_exception_fp_ieee_underflow 0
		.amdhsa_exception_fp_ieee_inexact 0
		.amdhsa_exception_int_div_zero 0
	.end_amdhsa_kernel
	.section	.text._ZN9rocsolver6v33100L22larf_left_kernel_smallILi1024EfiPfEEvT1_S3_T2_lS3_lPKT0_lS4_lS3_l,"axG",@progbits,_ZN9rocsolver6v33100L22larf_left_kernel_smallILi1024EfiPfEEvT1_S3_T2_lS3_lPKT0_lS4_lS3_l,comdat
.Lfunc_end4:
	.size	_ZN9rocsolver6v33100L22larf_left_kernel_smallILi1024EfiPfEEvT1_S3_T2_lS3_lPKT0_lS4_lS3_l, .Lfunc_end4-_ZN9rocsolver6v33100L22larf_left_kernel_smallILi1024EfiPfEEvT1_S3_T2_lS3_lPKT0_lS4_lS3_l
                                        ; -- End function
	.set _ZN9rocsolver6v33100L22larf_left_kernel_smallILi1024EfiPfEEvT1_S3_T2_lS3_lPKT0_lS4_lS3_l.num_vgpr, 36
	.set _ZN9rocsolver6v33100L22larf_left_kernel_smallILi1024EfiPfEEvT1_S3_T2_lS3_lPKT0_lS4_lS3_l.num_agpr, 0
	.set _ZN9rocsolver6v33100L22larf_left_kernel_smallILi1024EfiPfEEvT1_S3_T2_lS3_lPKT0_lS4_lS3_l.numbered_sgpr, 26
	.set _ZN9rocsolver6v33100L22larf_left_kernel_smallILi1024EfiPfEEvT1_S3_T2_lS3_lPKT0_lS4_lS3_l.num_named_barrier, 0
	.set _ZN9rocsolver6v33100L22larf_left_kernel_smallILi1024EfiPfEEvT1_S3_T2_lS3_lPKT0_lS4_lS3_l.private_seg_size, 0
	.set _ZN9rocsolver6v33100L22larf_left_kernel_smallILi1024EfiPfEEvT1_S3_T2_lS3_lPKT0_lS4_lS3_l.uses_vcc, 1
	.set _ZN9rocsolver6v33100L22larf_left_kernel_smallILi1024EfiPfEEvT1_S3_T2_lS3_lPKT0_lS4_lS3_l.uses_flat_scratch, 0
	.set _ZN9rocsolver6v33100L22larf_left_kernel_smallILi1024EfiPfEEvT1_S3_T2_lS3_lPKT0_lS4_lS3_l.has_dyn_sized_stack, 0
	.set _ZN9rocsolver6v33100L22larf_left_kernel_smallILi1024EfiPfEEvT1_S3_T2_lS3_lPKT0_lS4_lS3_l.has_recursion, 0
	.set _ZN9rocsolver6v33100L22larf_left_kernel_smallILi1024EfiPfEEvT1_S3_T2_lS3_lPKT0_lS4_lS3_l.has_indirect_call, 0
	.section	.AMDGPU.csdata,"",@progbits
; Kernel info:
; codeLenInByte = 1684
; TotalNumSgprs: 28
; NumVgprs: 36
; ScratchSize: 0
; MemoryBound: 0
; FloatMode: 240
; IeeeMode: 1
; LDSByteSize: 12288 bytes/workgroup (compile time only)
; SGPRBlocks: 0
; VGPRBlocks: 4
; NumSGPRsForWavesPerEU: 28
; NumVGPRsForWavesPerEU: 36
; Occupancy: 16
; WaveLimiterHint : 0
; COMPUTE_PGM_RSRC2:SCRATCH_EN: 0
; COMPUTE_PGM_RSRC2:USER_SGPR: 2
; COMPUTE_PGM_RSRC2:TRAP_HANDLER: 0
; COMPUTE_PGM_RSRC2:TGID_X_EN: 1
; COMPUTE_PGM_RSRC2:TGID_Y_EN: 1
; COMPUTE_PGM_RSRC2:TGID_Z_EN: 0
; COMPUTE_PGM_RSRC2:TIDIG_COMP_CNT: 0
	.section	.text._ZN9rocsolver6v33100L23larf_right_kernel_smallILi64EfiPfEEvT1_S3_T2_lS3_lPKT0_lS4_lS3_l,"axG",@progbits,_ZN9rocsolver6v33100L23larf_right_kernel_smallILi64EfiPfEEvT1_S3_T2_lS3_lPKT0_lS4_lS3_l,comdat
	.globl	_ZN9rocsolver6v33100L23larf_right_kernel_smallILi64EfiPfEEvT1_S3_T2_lS3_lPKT0_lS4_lS3_l ; -- Begin function _ZN9rocsolver6v33100L23larf_right_kernel_smallILi64EfiPfEEvT1_S3_T2_lS3_lPKT0_lS4_lS3_l
	.p2align	8
	.type	_ZN9rocsolver6v33100L23larf_right_kernel_smallILi64EfiPfEEvT1_S3_T2_lS3_lPKT0_lS4_lS3_l,@function
_ZN9rocsolver6v33100L23larf_right_kernel_smallILi64EfiPfEEvT1_S3_T2_lS3_lPKT0_lS4_lS3_l: ; @_ZN9rocsolver6v33100L23larf_right_kernel_smallILi64EfiPfEEvT1_S3_T2_lS3_lPKT0_lS4_lS3_l
; %bb.0:
	s_clause 0x2
	s_load_b64 s[12:13], s[0:1], 0x0
	s_load_b256 s[4:11], s[0:1], 0x20
	s_load_b64 s[16:17], s[0:1], 0x40
	v_lshlrev_b32_e32 v3, 2, v0
	s_mov_b32 s14, ttmp9
	s_ashr_i32 s15, ttmp9, 31
	s_wait_kmcnt 0x0
	v_cmp_gt_i32_e64 s2, s13, v0
	s_and_saveexec_b32 s3, s2
	s_cbranch_execz .LBB5_3
; %bb.1:
	s_clause 0x1
	s_load_b128 s[20:23], s[0:1], 0x8
	s_load_b32 s24, s[0:1], 0x18
	s_mul_u64 s[4:5], s[4:5], s[14:15]
	s_sub_co_i32 s25, 1, s13
	s_lshl_b64 s[4:5], s[4:5], 2
	v_dual_mov_b32 v5, v0 :: v_dual_lshlrev_b32 v4, 2, v0
	s_wait_kmcnt 0x0
	s_lshl_b64 s[18:19], s[22:23], 2
	s_mul_i32 s22, s24, s25
	s_cmp_lt_i32 s24, 1
	s_add_nc_u64 s[4:5], s[20:21], s[4:5]
	s_cselect_b32 s22, s22, 0
	s_add_nc_u64 s[4:5], s[4:5], s[18:19]
	v_mad_co_u64_u32 v[1:2], null, v0, s24, s[22:23]
	s_mov_b32 s18, 0
	s_lshl_b32 s19, s24, 6
.LBB5_2:                                ; =>This Inner Loop Header: Depth=1
	v_ashrrev_i32_e32 v2, 31, v1
	v_add_nc_u32_e32 v5, 64, v5
	s_delay_alu instid0(VALU_DEP_2) | instskip(SKIP_1) | instid1(VALU_DEP_2)
	v_lshlrev_b64_e32 v[6:7], 2, v[1:2]
	v_add_nc_u32_e32 v1, s19, v1
	v_add_co_u32 v6, vcc_lo, s4, v6
	s_wait_alu 0xfffd
	s_delay_alu instid0(VALU_DEP_3)
	v_add_co_ci_u32_e64 v7, null, s5, v7, vcc_lo
	v_cmp_le_i32_e32 vcc_lo, s13, v5
	global_load_b32 v2, v[6:7], off
	s_or_b32 s18, vcc_lo, s18
	s_wait_loadcnt 0x0
	ds_store_b32 v4, v2
	v_add_nc_u32_e32 v4, 0x100, v4
	s_wait_alu 0xfffe
	s_and_not1_b32 exec_lo, exec_lo, s18
	s_cbranch_execnz .LBB5_2
.LBB5_3:
	s_or_b32 exec_lo, exec_lo, s3
	s_cmp_ge_i32 ttmp7, s12
	s_wait_dscnt 0x0
	s_barrier_signal -1
	s_barrier_wait -1
	global_inv scope:SCOPE_SE
	s_cbranch_scc1 .LBB5_23
; %bb.4:
	s_clause 0x1
	s_load_b64 s[18:19], s[0:1], 0x50
	s_load_b32 s5, s[0:1], 0x48
	s_mul_u64 s[8:9], s[8:9], s[14:15]
	v_dual_mov_b32 v6, 0 :: v_dual_and_b32 v1, 31, v0
	v_mbcnt_lo_u32_b32 v5, -1, 0
	s_lshl_b64 s[8:9], s[8:9], 2
	s_lshl_b64 s[16:17], s[16:17], 2
	s_add_nc_u64 s[6:7], s[6:7], s[8:9]
	v_lshrrev_b32_e32 v4, 3, v0
	v_cmp_eq_u32_e64 s0, 0, v0
	v_cmp_eq_u32_e64 s1, 0, v1
	v_lshl_or_b32 v7, v5, 2, 64
	s_mov_b32 s4, ttmp7
	s_wait_kmcnt 0x0
	s_mul_u64 s[8:9], s[18:19], s[14:15]
	v_mul_lo_u32 v8, v0, s5
	s_lshl_b64 s[8:9], s[8:9], 2
	s_cmp_gt_i32 s13, 1
	s_add_nc_u64 s[8:9], s[10:11], s[8:9]
	s_cselect_b32 s3, -1, 0
	s_add_nc_u64 s[8:9], s[8:9], s[16:17]
	s_lshl_b32 s14, s5, 6
	s_branch .LBB5_6
.LBB5_5:                                ;   in Loop: Header=BB5_6 Depth=1
	s_wait_alu 0xfffe
	s_or_b32 exec_lo, exec_lo, s5
	s_add_co_i32 s4, s4, 64
	s_wait_alu 0xfffe
	s_cmp_ge_i32 s4, s12
	s_cbranch_scc1 .LBB5_23
.LBB5_6:                                ; =>This Loop Header: Depth=1
                                        ;     Child Loop BB5_8 Depth 2
                                        ;     Child Loop BB5_22 Depth 2
	s_wait_alu 0xfffe
	s_ashr_i32 s5, s4, 31
	v_mov_b32_e32 v9, 0
	s_wait_alu 0xfffe
	s_lshl_b64 s[10:11], s[4:5], 2
	s_wait_alu 0xfffe
	s_add_nc_u64 s[10:11], s[8:9], s[10:11]
	s_and_saveexec_b32 s5, s2
	s_cbranch_execz .LBB5_10
; %bb.7:                                ;   in Loop: Header=BB5_6 Depth=1
	v_dual_mov_b32 v9, 0 :: v_dual_mov_b32 v10, v3
	v_mov_b32_e32 v1, v8
	v_mov_b32_e32 v11, v0
	s_mov_b32 s15, 0
.LBB5_8:                                ;   Parent Loop BB5_6 Depth=1
                                        ; =>  This Inner Loop Header: Depth=2
	s_delay_alu instid0(VALU_DEP_2) | instskip(NEXT) | instid1(VALU_DEP_2)
	v_ashrrev_i32_e32 v2, 31, v1
	v_add_nc_u32_e32 v11, 64, v11
	s_delay_alu instid0(VALU_DEP_2) | instskip(SKIP_2) | instid1(VALU_DEP_2)
	v_lshlrev_b64_e32 v[12:13], 2, v[1:2]
	v_add_nc_u32_e32 v1, s14, v1
	s_wait_alu 0xfffe
	v_add_co_u32 v12, vcc_lo, s10, v12
	s_wait_alu 0xfffd
	s_delay_alu instid0(VALU_DEP_3)
	v_add_co_ci_u32_e64 v13, null, s11, v13, vcc_lo
	v_cmp_le_i32_e32 vcc_lo, s13, v11
	global_load_b32 v2, v[12:13], off
	ds_load_b32 v12, v10
	v_add_nc_u32_e32 v10, 0x100, v10
	s_or_b32 s15, vcc_lo, s15
	s_wait_loadcnt_dscnt 0x0
	v_fmac_f32_e32 v9, v12, v2
	s_wait_alu 0xfffe
	s_and_not1_b32 exec_lo, exec_lo, s15
	s_cbranch_execnz .LBB5_8
; %bb.9:                                ;   in Loop: Header=BB5_6 Depth=1
	s_or_b32 exec_lo, exec_lo, s15
.LBB5_10:                               ;   in Loop: Header=BB5_6 Depth=1
	s_wait_alu 0xfffe
	s_or_b32 exec_lo, exec_lo, s5
	s_delay_alu instid0(SALU_CYCLE_1)
	s_and_b32 vcc_lo, exec_lo, s3
	s_wait_alu 0xfffe
	s_cbranch_vccz .LBB5_17
; %bb.11:                               ;   in Loop: Header=BB5_6 Depth=1
	v_cmp_ne_u32_e32 vcc_lo, 31, v5
	s_wait_alu 0xfffd
	v_add_co_ci_u32_e64 v1, null, 0, v5, vcc_lo
	v_cmp_gt_u32_e32 vcc_lo, 30, v5
	s_delay_alu instid0(VALU_DEP_2)
	v_lshlrev_b32_e32 v1, 2, v1
	s_wait_alu 0xfffd
	v_cndmask_b32_e64 v2, 0, 2, vcc_lo
	v_cmp_gt_u32_e32 vcc_lo, 28, v5
	ds_bpermute_b32 v1, v1, v9
	v_add_lshl_u32 v2, v2, v5, 2
	s_wait_alu 0xfffd
	v_cndmask_b32_e64 v10, 0, 4, vcc_lo
	v_cmp_gt_u32_e32 vcc_lo, 24, v5
	s_delay_alu instid0(VALU_DEP_2)
	v_add_lshl_u32 v10, v10, v5, 2
	s_wait_dscnt 0x0
	v_add_f32_e32 v1, v9, v1
	ds_bpermute_b32 v2, v2, v1
	s_wait_dscnt 0x0
	v_add_f32_e32 v1, v1, v2
	ds_bpermute_b32 v2, v10, v1
	s_wait_alu 0xfffd
	v_cndmask_b32_e64 v10, 0, 8, vcc_lo
	s_wait_dscnt 0x0
	v_add_f32_e32 v1, v1, v2
	s_delay_alu instid0(VALU_DEP_2)
	v_add_lshl_u32 v2, v10, v5, 2
	ds_bpermute_b32 v2, v2, v1
	s_wait_dscnt 0x0
	v_add_f32_e32 v1, v1, v2
	ds_bpermute_b32 v2, v7, v1
	s_wait_dscnt 0x0
	v_add_f32_e32 v2, v1, v2
	s_and_saveexec_b32 s5, s1
; %bb.12:                               ;   in Loop: Header=BB5_6 Depth=1
	ds_store_b32 v4, v2 offset:8192
; %bb.13:                               ;   in Loop: Header=BB5_6 Depth=1
	s_wait_alu 0xfffe
	s_or_b32 exec_lo, exec_lo, s5
	s_mov_b32 s15, 0
	s_mov_b32 s5, 0
	s_wait_loadcnt_dscnt 0x0
	s_barrier_signal -1
	s_barrier_wait -1
	global_inv scope:SCOPE_SE
                                        ; implicit-def: $vgpr1
	s_and_saveexec_b32 s16, s0
	s_delay_alu instid0(SALU_CYCLE_1)
	s_xor_b32 s16, exec_lo, s16
	s_cbranch_execz .LBB5_15
; %bb.14:                               ;   in Loop: Header=BB5_6 Depth=1
	ds_load_b32 v1, v6 offset:8196
	s_mov_b32 s5, exec_lo
	s_wait_dscnt 0x0
	v_add_f32_e32 v1, v2, v1
.LBB5_15:                               ;   in Loop: Header=BB5_6 Depth=1
	s_or_b32 exec_lo, exec_lo, s16
	s_wait_alu 0xfffe
	s_and_b32 vcc_lo, exec_lo, s15
	s_wait_alu 0xfffe
	s_cbranch_vccnz .LBB5_18
.LBB5_16:                               ;   in Loop: Header=BB5_6 Depth=1
	v_mov_b32_e32 v9, v1
	s_wait_alu 0xfffe
	s_and_saveexec_b32 s15, s5
	s_cbranch_execnz .LBB5_19
	s_branch .LBB5_20
.LBB5_17:                               ;   in Loop: Header=BB5_6 Depth=1
	s_mov_b32 s5, 0
                                        ; implicit-def: $vgpr1
	s_cbranch_execz .LBB5_16
.LBB5_18:                               ;   in Loop: Header=BB5_6 Depth=1
	s_wait_alu 0xfffe
	s_and_not1_b32 s5, s5, exec_lo
	s_and_b32 s15, s0, exec_lo
	s_wait_alu 0xfffe
	s_or_b32 s5, s5, s15
	s_wait_alu 0xfffe
	s_and_saveexec_b32 s15, s5
.LBB5_19:                               ;   in Loop: Header=BB5_6 Depth=1
	ds_store_b32 v6, v9 offset:8192
.LBB5_20:                               ;   in Loop: Header=BB5_6 Depth=1
	s_wait_alu 0xfffe
	s_or_b32 exec_lo, exec_lo, s15
	s_wait_loadcnt_dscnt 0x0
	s_barrier_signal -1
	s_barrier_wait -1
	global_inv scope:SCOPE_SE
	s_and_saveexec_b32 s5, s2
	s_cbranch_execz .LBB5_5
; %bb.21:                               ;   in Loop: Header=BB5_6 Depth=1
	global_load_b32 v1, v6, s[6:7]
	ds_load_b32 v2, v6 offset:8192
	v_mov_b32_e32 v11, v0
	s_mov_b32 s15, 0
	s_wait_loadcnt 0x0
	v_xor_b32_e32 v10, 0x80000000, v1
	v_mov_b32_e32 v9, v3
	s_wait_dscnt 0x0
	s_delay_alu instid0(VALU_DEP_2)
	v_dual_mov_b32 v1, v8 :: v_dual_mul_f32 v10, v2, v10
.LBB5_22:                               ;   Parent Loop BB5_6 Depth=1
                                        ; =>  This Inner Loop Header: Depth=2
	s_delay_alu instid0(VALU_DEP_1) | instskip(SKIP_4) | instid1(VALU_DEP_2)
	v_ashrrev_i32_e32 v2, 31, v1
	ds_load_b32 v14, v9
	v_add_nc_u32_e32 v9, 0x100, v9
	v_lshlrev_b64_e32 v[12:13], 2, v[1:2]
	v_add_nc_u32_e32 v1, s14, v1
	v_add_co_u32 v12, vcc_lo, s10, v12
	s_wait_alu 0xfffd
	s_delay_alu instid0(VALU_DEP_3) | instskip(SKIP_3) | instid1(VALU_DEP_1)
	v_add_co_ci_u32_e64 v13, null, s11, v13, vcc_lo
	global_load_b32 v2, v[12:13], off
	s_wait_loadcnt_dscnt 0x0
	v_dual_fmac_f32 v2, v10, v14 :: v_dual_add_nc_u32 v11, 64, v11
	v_cmp_le_i32_e32 vcc_lo, s13, v11
	global_store_b32 v[12:13], v2, off
	s_wait_alu 0xfffe
	s_or_b32 s15, vcc_lo, s15
	s_wait_alu 0xfffe
	s_and_not1_b32 exec_lo, exec_lo, s15
	s_cbranch_execnz .LBB5_22
	s_branch .LBB5_5
.LBB5_23:
	s_endpgm
	.section	.rodata,"a",@progbits
	.p2align	6, 0x0
	.amdhsa_kernel _ZN9rocsolver6v33100L23larf_right_kernel_smallILi64EfiPfEEvT1_S3_T2_lS3_lPKT0_lS4_lS3_l
		.amdhsa_group_segment_fixed_size 8200
		.amdhsa_private_segment_fixed_size 0
		.amdhsa_kernarg_size 88
		.amdhsa_user_sgpr_count 2
		.amdhsa_user_sgpr_dispatch_ptr 0
		.amdhsa_user_sgpr_queue_ptr 0
		.amdhsa_user_sgpr_kernarg_segment_ptr 1
		.amdhsa_user_sgpr_dispatch_id 0
		.amdhsa_user_sgpr_private_segment_size 0
		.amdhsa_wavefront_size32 1
		.amdhsa_uses_dynamic_stack 0
		.amdhsa_enable_private_segment 0
		.amdhsa_system_sgpr_workgroup_id_x 1
		.amdhsa_system_sgpr_workgroup_id_y 1
		.amdhsa_system_sgpr_workgroup_id_z 0
		.amdhsa_system_sgpr_workgroup_info 0
		.amdhsa_system_vgpr_workitem_id 0
		.amdhsa_next_free_vgpr 169
		.amdhsa_next_free_sgpr 26
		.amdhsa_reserve_vcc 1
		.amdhsa_float_round_mode_32 0
		.amdhsa_float_round_mode_16_64 0
		.amdhsa_float_denorm_mode_32 3
		.amdhsa_float_denorm_mode_16_64 3
		.amdhsa_fp16_overflow 0
		.amdhsa_workgroup_processor_mode 1
		.amdhsa_memory_ordered 1
		.amdhsa_forward_progress 1
		.amdhsa_inst_pref_size 10
		.amdhsa_round_robin_scheduling 0
		.amdhsa_exception_fp_ieee_invalid_op 0
		.amdhsa_exception_fp_denorm_src 0
		.amdhsa_exception_fp_ieee_div_zero 0
		.amdhsa_exception_fp_ieee_overflow 0
		.amdhsa_exception_fp_ieee_underflow 0
		.amdhsa_exception_fp_ieee_inexact 0
		.amdhsa_exception_int_div_zero 0
	.end_amdhsa_kernel
	.section	.text._ZN9rocsolver6v33100L23larf_right_kernel_smallILi64EfiPfEEvT1_S3_T2_lS3_lPKT0_lS4_lS3_l,"axG",@progbits,_ZN9rocsolver6v33100L23larf_right_kernel_smallILi64EfiPfEEvT1_S3_T2_lS3_lPKT0_lS4_lS3_l,comdat
.Lfunc_end5:
	.size	_ZN9rocsolver6v33100L23larf_right_kernel_smallILi64EfiPfEEvT1_S3_T2_lS3_lPKT0_lS4_lS3_l, .Lfunc_end5-_ZN9rocsolver6v33100L23larf_right_kernel_smallILi64EfiPfEEvT1_S3_T2_lS3_lPKT0_lS4_lS3_l
                                        ; -- End function
	.set _ZN9rocsolver6v33100L23larf_right_kernel_smallILi64EfiPfEEvT1_S3_T2_lS3_lPKT0_lS4_lS3_l.num_vgpr, 15
	.set _ZN9rocsolver6v33100L23larf_right_kernel_smallILi64EfiPfEEvT1_S3_T2_lS3_lPKT0_lS4_lS3_l.num_agpr, 0
	.set _ZN9rocsolver6v33100L23larf_right_kernel_smallILi64EfiPfEEvT1_S3_T2_lS3_lPKT0_lS4_lS3_l.numbered_sgpr, 26
	.set _ZN9rocsolver6v33100L23larf_right_kernel_smallILi64EfiPfEEvT1_S3_T2_lS3_lPKT0_lS4_lS3_l.num_named_barrier, 0
	.set _ZN9rocsolver6v33100L23larf_right_kernel_smallILi64EfiPfEEvT1_S3_T2_lS3_lPKT0_lS4_lS3_l.private_seg_size, 0
	.set _ZN9rocsolver6v33100L23larf_right_kernel_smallILi64EfiPfEEvT1_S3_T2_lS3_lPKT0_lS4_lS3_l.uses_vcc, 1
	.set _ZN9rocsolver6v33100L23larf_right_kernel_smallILi64EfiPfEEvT1_S3_T2_lS3_lPKT0_lS4_lS3_l.uses_flat_scratch, 0
	.set _ZN9rocsolver6v33100L23larf_right_kernel_smallILi64EfiPfEEvT1_S3_T2_lS3_lPKT0_lS4_lS3_l.has_dyn_sized_stack, 0
	.set _ZN9rocsolver6v33100L23larf_right_kernel_smallILi64EfiPfEEvT1_S3_T2_lS3_lPKT0_lS4_lS3_l.has_recursion, 0
	.set _ZN9rocsolver6v33100L23larf_right_kernel_smallILi64EfiPfEEvT1_S3_T2_lS3_lPKT0_lS4_lS3_l.has_indirect_call, 0
	.section	.AMDGPU.csdata,"",@progbits
; Kernel info:
; codeLenInByte = 1200
; TotalNumSgprs: 28
; NumVgprs: 15
; ScratchSize: 0
; MemoryBound: 0
; FloatMode: 240
; IeeeMode: 1
; LDSByteSize: 8200 bytes/workgroup (compile time only)
; SGPRBlocks: 0
; VGPRBlocks: 21
; NumSGPRsForWavesPerEU: 28
; NumVGPRsForWavesPerEU: 169
; Occupancy: 8
; WaveLimiterHint : 0
; COMPUTE_PGM_RSRC2:SCRATCH_EN: 0
; COMPUTE_PGM_RSRC2:USER_SGPR: 2
; COMPUTE_PGM_RSRC2:TRAP_HANDLER: 0
; COMPUTE_PGM_RSRC2:TGID_X_EN: 1
; COMPUTE_PGM_RSRC2:TGID_Y_EN: 1
; COMPUTE_PGM_RSRC2:TGID_Z_EN: 0
; COMPUTE_PGM_RSRC2:TIDIG_COMP_CNT: 0
	.section	.text._ZN9rocsolver6v33100L23larf_right_kernel_smallILi128EfiPfEEvT1_S3_T2_lS3_lPKT0_lS4_lS3_l,"axG",@progbits,_ZN9rocsolver6v33100L23larf_right_kernel_smallILi128EfiPfEEvT1_S3_T2_lS3_lPKT0_lS4_lS3_l,comdat
	.globl	_ZN9rocsolver6v33100L23larf_right_kernel_smallILi128EfiPfEEvT1_S3_T2_lS3_lPKT0_lS4_lS3_l ; -- Begin function _ZN9rocsolver6v33100L23larf_right_kernel_smallILi128EfiPfEEvT1_S3_T2_lS3_lPKT0_lS4_lS3_l
	.p2align	8
	.type	_ZN9rocsolver6v33100L23larf_right_kernel_smallILi128EfiPfEEvT1_S3_T2_lS3_lPKT0_lS4_lS3_l,@function
_ZN9rocsolver6v33100L23larf_right_kernel_smallILi128EfiPfEEvT1_S3_T2_lS3_lPKT0_lS4_lS3_l: ; @_ZN9rocsolver6v33100L23larf_right_kernel_smallILi128EfiPfEEvT1_S3_T2_lS3_lPKT0_lS4_lS3_l
; %bb.0:
	s_clause 0x2
	s_load_b64 s[12:13], s[0:1], 0x0
	s_load_b256 s[4:11], s[0:1], 0x20
	s_load_b64 s[16:17], s[0:1], 0x40
	v_lshlrev_b32_e32 v3, 2, v0
	s_mov_b32 s14, ttmp9
	s_ashr_i32 s15, ttmp9, 31
	s_wait_kmcnt 0x0
	v_cmp_gt_i32_e64 s2, s13, v0
	s_and_saveexec_b32 s3, s2
	s_cbranch_execz .LBB6_3
; %bb.1:
	s_clause 0x1
	s_load_b128 s[20:23], s[0:1], 0x8
	s_load_b32 s24, s[0:1], 0x18
	s_mul_u64 s[4:5], s[4:5], s[14:15]
	s_sub_co_i32 s25, 1, s13
	s_lshl_b64 s[4:5], s[4:5], 2
	v_dual_mov_b32 v5, v0 :: v_dual_lshlrev_b32 v4, 2, v0
	s_wait_kmcnt 0x0
	s_lshl_b64 s[18:19], s[22:23], 2
	s_mul_i32 s22, s24, s25
	s_cmp_lt_i32 s24, 1
	s_add_nc_u64 s[4:5], s[20:21], s[4:5]
	s_cselect_b32 s22, s22, 0
	s_add_nc_u64 s[4:5], s[4:5], s[18:19]
	v_mad_co_u64_u32 v[1:2], null, v0, s24, s[22:23]
	s_mov_b32 s18, 0
	s_lshl_b32 s19, s24, 7
.LBB6_2:                                ; =>This Inner Loop Header: Depth=1
	v_ashrrev_i32_e32 v2, 31, v1
	v_add_nc_u32_e32 v5, 0x80, v5
	s_delay_alu instid0(VALU_DEP_2) | instskip(SKIP_1) | instid1(VALU_DEP_2)
	v_lshlrev_b64_e32 v[6:7], 2, v[1:2]
	v_add_nc_u32_e32 v1, s19, v1
	v_add_co_u32 v6, vcc_lo, s4, v6
	s_wait_alu 0xfffd
	s_delay_alu instid0(VALU_DEP_3)
	v_add_co_ci_u32_e64 v7, null, s5, v7, vcc_lo
	v_cmp_le_i32_e32 vcc_lo, s13, v5
	global_load_b32 v2, v[6:7], off
	s_or_b32 s18, vcc_lo, s18
	s_wait_loadcnt 0x0
	ds_store_b32 v4, v2
	v_add_nc_u32_e32 v4, 0x200, v4
	s_wait_alu 0xfffe
	s_and_not1_b32 exec_lo, exec_lo, s18
	s_cbranch_execnz .LBB6_2
.LBB6_3:
	s_or_b32 exec_lo, exec_lo, s3
	s_cmp_ge_i32 ttmp7, s12
	s_wait_dscnt 0x0
	s_barrier_signal -1
	s_barrier_wait -1
	global_inv scope:SCOPE_SE
	s_cbranch_scc1 .LBB6_23
; %bb.4:
	s_clause 0x1
	s_load_b64 s[18:19], s[0:1], 0x50
	s_load_b32 s5, s[0:1], 0x48
	s_mul_u64 s[8:9], s[8:9], s[14:15]
	v_dual_mov_b32 v6, 0x2004 :: v_dual_and_b32 v1, 31, v0
	v_mbcnt_lo_u32_b32 v5, -1, 0
	s_lshl_b64 s[8:9], s[8:9], 2
	s_lshl_b64 s[16:17], s[16:17], 2
	s_add_nc_u64 s[6:7], s[6:7], s[8:9]
	v_lshrrev_b32_e32 v4, 3, v0
	v_cmp_eq_u32_e64 s0, 0, v0
	v_mov_b32_e32 v7, 0
	v_cmp_eq_u32_e64 s1, 0, v1
	v_lshl_or_b32 v8, v5, 2, 64
	s_mov_b32 s4, ttmp7
	s_wait_kmcnt 0x0
	s_mul_u64 s[8:9], s[18:19], s[14:15]
	v_mul_lo_u32 v9, v0, s5
	s_lshl_b64 s[8:9], s[8:9], 2
	s_cmp_gt_i32 s13, 1
	s_add_nc_u64 s[8:9], s[10:11], s[8:9]
	s_cselect_b32 s3, -1, 0
	s_add_nc_u64 s[8:9], s[8:9], s[16:17]
	s_lshl_b32 s14, s5, 7
	s_branch .LBB6_6
.LBB6_5:                                ;   in Loop: Header=BB6_6 Depth=1
	s_wait_alu 0xfffe
	s_or_b32 exec_lo, exec_lo, s5
	s_add_co_i32 s4, s4, 64
	s_wait_alu 0xfffe
	s_cmp_ge_i32 s4, s12
	s_cbranch_scc1 .LBB6_23
.LBB6_6:                                ; =>This Loop Header: Depth=1
                                        ;     Child Loop BB6_8 Depth 2
                                        ;     Child Loop BB6_22 Depth 2
	s_wait_alu 0xfffe
	s_ashr_i32 s5, s4, 31
	v_mov_b32_e32 v10, 0
	s_wait_alu 0xfffe
	s_lshl_b64 s[10:11], s[4:5], 2
	s_wait_alu 0xfffe
	s_add_nc_u64 s[10:11], s[8:9], s[10:11]
	s_and_saveexec_b32 s5, s2
	s_cbranch_execz .LBB6_10
; %bb.7:                                ;   in Loop: Header=BB6_6 Depth=1
	v_dual_mov_b32 v10, 0 :: v_dual_mov_b32 v1, v9
	v_dual_mov_b32 v11, v3 :: v_dual_mov_b32 v12, v0
	s_mov_b32 s15, 0
.LBB6_8:                                ;   Parent Loop BB6_6 Depth=1
                                        ; =>  This Inner Loop Header: Depth=2
	s_delay_alu instid0(VALU_DEP_2) | instskip(NEXT) | instid1(VALU_DEP_2)
	v_ashrrev_i32_e32 v2, 31, v1
	v_add_nc_u32_e32 v12, 0x80, v12
	s_delay_alu instid0(VALU_DEP_2) | instskip(SKIP_2) | instid1(VALU_DEP_2)
	v_lshlrev_b64_e32 v[13:14], 2, v[1:2]
	v_add_nc_u32_e32 v1, s14, v1
	s_wait_alu 0xfffe
	v_add_co_u32 v13, vcc_lo, s10, v13
	s_wait_alu 0xfffd
	s_delay_alu instid0(VALU_DEP_3)
	v_add_co_ci_u32_e64 v14, null, s11, v14, vcc_lo
	v_cmp_le_i32_e32 vcc_lo, s13, v12
	global_load_b32 v2, v[13:14], off
	ds_load_b32 v13, v11
	v_add_nc_u32_e32 v11, 0x200, v11
	s_or_b32 s15, vcc_lo, s15
	s_wait_loadcnt_dscnt 0x0
	v_fmac_f32_e32 v10, v13, v2
	s_wait_alu 0xfffe
	s_and_not1_b32 exec_lo, exec_lo, s15
	s_cbranch_execnz .LBB6_8
; %bb.9:                                ;   in Loop: Header=BB6_6 Depth=1
	s_or_b32 exec_lo, exec_lo, s15
.LBB6_10:                               ;   in Loop: Header=BB6_6 Depth=1
	s_wait_alu 0xfffe
	s_or_b32 exec_lo, exec_lo, s5
	s_delay_alu instid0(SALU_CYCLE_1)
	s_and_b32 vcc_lo, exec_lo, s3
	s_wait_alu 0xfffe
	s_cbranch_vccz .LBB6_17
; %bb.11:                               ;   in Loop: Header=BB6_6 Depth=1
	v_cmp_ne_u32_e32 vcc_lo, 31, v5
	s_wait_alu 0xfffd
	v_add_co_ci_u32_e64 v1, null, 0, v5, vcc_lo
	v_cmp_gt_u32_e32 vcc_lo, 30, v5
	s_delay_alu instid0(VALU_DEP_2)
	v_lshlrev_b32_e32 v1, 2, v1
	s_wait_alu 0xfffd
	v_cndmask_b32_e64 v2, 0, 2, vcc_lo
	v_cmp_gt_u32_e32 vcc_lo, 28, v5
	ds_bpermute_b32 v1, v1, v10
	v_add_lshl_u32 v2, v2, v5, 2
	s_wait_alu 0xfffd
	v_cndmask_b32_e64 v11, 0, 4, vcc_lo
	v_cmp_gt_u32_e32 vcc_lo, 24, v5
	s_delay_alu instid0(VALU_DEP_2)
	v_add_lshl_u32 v11, v11, v5, 2
	s_wait_dscnt 0x0
	v_add_f32_e32 v1, v10, v1
	ds_bpermute_b32 v2, v2, v1
	s_wait_dscnt 0x0
	v_add_f32_e32 v1, v1, v2
	ds_bpermute_b32 v2, v11, v1
	s_wait_alu 0xfffd
	v_cndmask_b32_e64 v11, 0, 8, vcc_lo
	s_wait_dscnt 0x0
	v_add_f32_e32 v1, v1, v2
	s_delay_alu instid0(VALU_DEP_2)
	v_add_lshl_u32 v2, v11, v5, 2
	ds_bpermute_b32 v2, v2, v1
	s_wait_dscnt 0x0
	v_add_f32_e32 v1, v1, v2
	ds_bpermute_b32 v2, v8, v1
	s_wait_dscnt 0x0
	v_add_f32_e32 v2, v1, v2
	s_and_saveexec_b32 s5, s1
; %bb.12:                               ;   in Loop: Header=BB6_6 Depth=1
	ds_store_b32 v4, v2 offset:8192
; %bb.13:                               ;   in Loop: Header=BB6_6 Depth=1
	s_wait_alu 0xfffe
	s_or_b32 exec_lo, exec_lo, s5
	s_mov_b32 s15, 0
	s_mov_b32 s5, 0
	s_wait_loadcnt_dscnt 0x0
	s_barrier_signal -1
	s_barrier_wait -1
	global_inv scope:SCOPE_SE
                                        ; implicit-def: $vgpr1
	s_and_saveexec_b32 s16, s0
	s_delay_alu instid0(SALU_CYCLE_1)
	s_xor_b32 s16, exec_lo, s16
	s_cbranch_execz .LBB6_15
; %bb.14:                               ;   in Loop: Header=BB6_6 Depth=1
	ds_load_2addr_b32 v[11:12], v6 offset1:1
	ds_load_b32 v1, v7 offset:8204
	s_mov_b32 s5, exec_lo
	s_wait_dscnt 0x1
	v_add_f32_e32 v2, v2, v11
	s_delay_alu instid0(VALU_DEP_1) | instskip(SKIP_1) | instid1(VALU_DEP_1)
	v_add_f32_e32 v2, v2, v12
	s_wait_dscnt 0x0
	v_add_f32_e32 v1, v2, v1
.LBB6_15:                               ;   in Loop: Header=BB6_6 Depth=1
	s_or_b32 exec_lo, exec_lo, s16
	s_wait_alu 0xfffe
	s_and_b32 vcc_lo, exec_lo, s15
	s_wait_alu 0xfffe
	s_cbranch_vccnz .LBB6_18
.LBB6_16:                               ;   in Loop: Header=BB6_6 Depth=1
	v_mov_b32_e32 v10, v1
	s_wait_alu 0xfffe
	s_and_saveexec_b32 s15, s5
	s_cbranch_execnz .LBB6_19
	s_branch .LBB6_20
.LBB6_17:                               ;   in Loop: Header=BB6_6 Depth=1
	s_mov_b32 s5, 0
                                        ; implicit-def: $vgpr1
	s_cbranch_execz .LBB6_16
.LBB6_18:                               ;   in Loop: Header=BB6_6 Depth=1
	s_wait_alu 0xfffe
	s_and_not1_b32 s5, s5, exec_lo
	s_and_b32 s15, s0, exec_lo
	s_wait_alu 0xfffe
	s_or_b32 s5, s5, s15
	s_wait_alu 0xfffe
	s_and_saveexec_b32 s15, s5
.LBB6_19:                               ;   in Loop: Header=BB6_6 Depth=1
	ds_store_b32 v7, v10 offset:8192
.LBB6_20:                               ;   in Loop: Header=BB6_6 Depth=1
	s_wait_alu 0xfffe
	s_or_b32 exec_lo, exec_lo, s15
	s_wait_loadcnt_dscnt 0x0
	s_barrier_signal -1
	s_barrier_wait -1
	global_inv scope:SCOPE_SE
	s_and_saveexec_b32 s5, s2
	s_cbranch_execz .LBB6_5
; %bb.21:                               ;   in Loop: Header=BB6_6 Depth=1
	global_load_b32 v1, v7, s[6:7]
	ds_load_b32 v2, v7 offset:8192
	v_mov_b32_e32 v10, v3
	s_mov_b32 s15, 0
	v_mov_b32_e32 v12, v0
	s_wait_loadcnt 0x0
	v_xor_b32_e32 v11, 0x80000000, v1
	v_mov_b32_e32 v1, v9
	s_wait_dscnt 0x0
	s_delay_alu instid0(VALU_DEP_2)
	v_mul_f32_e32 v11, v2, v11
.LBB6_22:                               ;   Parent Loop BB6_6 Depth=1
                                        ; =>  This Inner Loop Header: Depth=2
	s_delay_alu instid0(VALU_DEP_2)
	v_ashrrev_i32_e32 v2, 31, v1
	ds_load_b32 v15, v10
	v_add_nc_u32_e32 v12, 0x80, v12
	v_add_nc_u32_e32 v10, 0x200, v10
	v_lshlrev_b64_e32 v[13:14], 2, v[1:2]
	v_add_nc_u32_e32 v1, s14, v1
	s_delay_alu instid0(VALU_DEP_2) | instskip(SKIP_1) | instid1(VALU_DEP_3)
	v_add_co_u32 v13, vcc_lo, s10, v13
	s_wait_alu 0xfffd
	v_add_co_ci_u32_e64 v14, null, s11, v14, vcc_lo
	v_cmp_le_i32_e32 vcc_lo, s13, v12
	global_load_b32 v2, v[13:14], off
	s_wait_alu 0xfffe
	s_or_b32 s15, vcc_lo, s15
	s_wait_loadcnt_dscnt 0x0
	v_fmac_f32_e32 v2, v11, v15
	global_store_b32 v[13:14], v2, off
	s_wait_alu 0xfffe
	s_and_not1_b32 exec_lo, exec_lo, s15
	s_cbranch_execnz .LBB6_22
	s_branch .LBB6_5
.LBB6_23:
	s_endpgm
	.section	.rodata,"a",@progbits
	.p2align	6, 0x0
	.amdhsa_kernel _ZN9rocsolver6v33100L23larf_right_kernel_smallILi128EfiPfEEvT1_S3_T2_lS3_lPKT0_lS4_lS3_l
		.amdhsa_group_segment_fixed_size 8208
		.amdhsa_private_segment_fixed_size 0
		.amdhsa_kernarg_size 88
		.amdhsa_user_sgpr_count 2
		.amdhsa_user_sgpr_dispatch_ptr 0
		.amdhsa_user_sgpr_queue_ptr 0
		.amdhsa_user_sgpr_kernarg_segment_ptr 1
		.amdhsa_user_sgpr_dispatch_id 0
		.amdhsa_user_sgpr_private_segment_size 0
		.amdhsa_wavefront_size32 1
		.amdhsa_uses_dynamic_stack 0
		.amdhsa_enable_private_segment 0
		.amdhsa_system_sgpr_workgroup_id_x 1
		.amdhsa_system_sgpr_workgroup_id_y 1
		.amdhsa_system_sgpr_workgroup_id_z 0
		.amdhsa_system_sgpr_workgroup_info 0
		.amdhsa_system_vgpr_workitem_id 0
		.amdhsa_next_free_vgpr 16
		.amdhsa_next_free_sgpr 26
		.amdhsa_reserve_vcc 1
		.amdhsa_float_round_mode_32 0
		.amdhsa_float_round_mode_16_64 0
		.amdhsa_float_denorm_mode_32 3
		.amdhsa_float_denorm_mode_16_64 3
		.amdhsa_fp16_overflow 0
		.amdhsa_workgroup_processor_mode 1
		.amdhsa_memory_ordered 1
		.amdhsa_forward_progress 1
		.amdhsa_inst_pref_size 10
		.amdhsa_round_robin_scheduling 0
		.amdhsa_exception_fp_ieee_invalid_op 0
		.amdhsa_exception_fp_denorm_src 0
		.amdhsa_exception_fp_ieee_div_zero 0
		.amdhsa_exception_fp_ieee_overflow 0
		.amdhsa_exception_fp_ieee_underflow 0
		.amdhsa_exception_fp_ieee_inexact 0
		.amdhsa_exception_int_div_zero 0
	.end_amdhsa_kernel
	.section	.text._ZN9rocsolver6v33100L23larf_right_kernel_smallILi128EfiPfEEvT1_S3_T2_lS3_lPKT0_lS4_lS3_l,"axG",@progbits,_ZN9rocsolver6v33100L23larf_right_kernel_smallILi128EfiPfEEvT1_S3_T2_lS3_lPKT0_lS4_lS3_l,comdat
.Lfunc_end6:
	.size	_ZN9rocsolver6v33100L23larf_right_kernel_smallILi128EfiPfEEvT1_S3_T2_lS3_lPKT0_lS4_lS3_l, .Lfunc_end6-_ZN9rocsolver6v33100L23larf_right_kernel_smallILi128EfiPfEEvT1_S3_T2_lS3_lPKT0_lS4_lS3_l
                                        ; -- End function
	.set _ZN9rocsolver6v33100L23larf_right_kernel_smallILi128EfiPfEEvT1_S3_T2_lS3_lPKT0_lS4_lS3_l.num_vgpr, 16
	.set _ZN9rocsolver6v33100L23larf_right_kernel_smallILi128EfiPfEEvT1_S3_T2_lS3_lPKT0_lS4_lS3_l.num_agpr, 0
	.set _ZN9rocsolver6v33100L23larf_right_kernel_smallILi128EfiPfEEvT1_S3_T2_lS3_lPKT0_lS4_lS3_l.numbered_sgpr, 26
	.set _ZN9rocsolver6v33100L23larf_right_kernel_smallILi128EfiPfEEvT1_S3_T2_lS3_lPKT0_lS4_lS3_l.num_named_barrier, 0
	.set _ZN9rocsolver6v33100L23larf_right_kernel_smallILi128EfiPfEEvT1_S3_T2_lS3_lPKT0_lS4_lS3_l.private_seg_size, 0
	.set _ZN9rocsolver6v33100L23larf_right_kernel_smallILi128EfiPfEEvT1_S3_T2_lS3_lPKT0_lS4_lS3_l.uses_vcc, 1
	.set _ZN9rocsolver6v33100L23larf_right_kernel_smallILi128EfiPfEEvT1_S3_T2_lS3_lPKT0_lS4_lS3_l.uses_flat_scratch, 0
	.set _ZN9rocsolver6v33100L23larf_right_kernel_smallILi128EfiPfEEvT1_S3_T2_lS3_lPKT0_lS4_lS3_l.has_dyn_sized_stack, 0
	.set _ZN9rocsolver6v33100L23larf_right_kernel_smallILi128EfiPfEEvT1_S3_T2_lS3_lPKT0_lS4_lS3_l.has_recursion, 0
	.set _ZN9rocsolver6v33100L23larf_right_kernel_smallILi128EfiPfEEvT1_S3_T2_lS3_lPKT0_lS4_lS3_l.has_indirect_call, 0
	.section	.AMDGPU.csdata,"",@progbits
; Kernel info:
; codeLenInByte = 1244
; TotalNumSgprs: 28
; NumVgprs: 16
; ScratchSize: 0
; MemoryBound: 0
; FloatMode: 240
; IeeeMode: 1
; LDSByteSize: 8208 bytes/workgroup (compile time only)
; SGPRBlocks: 0
; VGPRBlocks: 1
; NumSGPRsForWavesPerEU: 28
; NumVGPRsForWavesPerEU: 16
; Occupancy: 15
; WaveLimiterHint : 0
; COMPUTE_PGM_RSRC2:SCRATCH_EN: 0
; COMPUTE_PGM_RSRC2:USER_SGPR: 2
; COMPUTE_PGM_RSRC2:TRAP_HANDLER: 0
; COMPUTE_PGM_RSRC2:TGID_X_EN: 1
; COMPUTE_PGM_RSRC2:TGID_Y_EN: 1
; COMPUTE_PGM_RSRC2:TGID_Z_EN: 0
; COMPUTE_PGM_RSRC2:TIDIG_COMP_CNT: 0
	.section	.text._ZN9rocsolver6v33100L23larf_right_kernel_smallILi256EfiPfEEvT1_S3_T2_lS3_lPKT0_lS4_lS3_l,"axG",@progbits,_ZN9rocsolver6v33100L23larf_right_kernel_smallILi256EfiPfEEvT1_S3_T2_lS3_lPKT0_lS4_lS3_l,comdat
	.globl	_ZN9rocsolver6v33100L23larf_right_kernel_smallILi256EfiPfEEvT1_S3_T2_lS3_lPKT0_lS4_lS3_l ; -- Begin function _ZN9rocsolver6v33100L23larf_right_kernel_smallILi256EfiPfEEvT1_S3_T2_lS3_lPKT0_lS4_lS3_l
	.p2align	8
	.type	_ZN9rocsolver6v33100L23larf_right_kernel_smallILi256EfiPfEEvT1_S3_T2_lS3_lPKT0_lS4_lS3_l,@function
_ZN9rocsolver6v33100L23larf_right_kernel_smallILi256EfiPfEEvT1_S3_T2_lS3_lPKT0_lS4_lS3_l: ; @_ZN9rocsolver6v33100L23larf_right_kernel_smallILi256EfiPfEEvT1_S3_T2_lS3_lPKT0_lS4_lS3_l
; %bb.0:
	s_clause 0x2
	s_load_b64 s[12:13], s[0:1], 0x0
	s_load_b256 s[4:11], s[0:1], 0x20
	s_load_b64 s[16:17], s[0:1], 0x40
	v_lshlrev_b32_e32 v3, 2, v0
	s_mov_b32 s14, ttmp9
	s_ashr_i32 s15, ttmp9, 31
	s_wait_kmcnt 0x0
	v_cmp_gt_i32_e64 s2, s13, v0
	s_and_saveexec_b32 s3, s2
	s_cbranch_execz .LBB7_3
; %bb.1:
	s_clause 0x1
	s_load_b128 s[20:23], s[0:1], 0x8
	s_load_b32 s24, s[0:1], 0x18
	s_mul_u64 s[4:5], s[4:5], s[14:15]
	s_sub_co_i32 s25, 1, s13
	s_lshl_b64 s[4:5], s[4:5], 2
	v_dual_mov_b32 v5, v0 :: v_dual_lshlrev_b32 v4, 2, v0
	s_wait_kmcnt 0x0
	s_lshl_b64 s[18:19], s[22:23], 2
	s_mul_i32 s22, s24, s25
	s_cmp_lt_i32 s24, 1
	s_add_nc_u64 s[4:5], s[20:21], s[4:5]
	s_cselect_b32 s22, s22, 0
	s_add_nc_u64 s[4:5], s[4:5], s[18:19]
	v_mad_co_u64_u32 v[1:2], null, v0, s24, s[22:23]
	s_mov_b32 s18, 0
	s_lshl_b32 s19, s24, 8
.LBB7_2:                                ; =>This Inner Loop Header: Depth=1
	v_ashrrev_i32_e32 v2, 31, v1
	v_add_nc_u32_e32 v5, 0x100, v5
	s_delay_alu instid0(VALU_DEP_2) | instskip(SKIP_1) | instid1(VALU_DEP_2)
	v_lshlrev_b64_e32 v[6:7], 2, v[1:2]
	v_add_nc_u32_e32 v1, s19, v1
	v_add_co_u32 v6, vcc_lo, s4, v6
	s_wait_alu 0xfffd
	s_delay_alu instid0(VALU_DEP_3)
	v_add_co_ci_u32_e64 v7, null, s5, v7, vcc_lo
	v_cmp_le_i32_e32 vcc_lo, s13, v5
	global_load_b32 v2, v[6:7], off
	s_or_b32 s18, vcc_lo, s18
	s_wait_loadcnt 0x0
	ds_store_b32 v4, v2
	v_add_nc_u32_e32 v4, 0x400, v4
	s_wait_alu 0xfffe
	s_and_not1_b32 exec_lo, exec_lo, s18
	s_cbranch_execnz .LBB7_2
.LBB7_3:
	s_or_b32 exec_lo, exec_lo, s3
	s_cmp_ge_i32 ttmp7, s12
	s_wait_dscnt 0x0
	s_barrier_signal -1
	s_barrier_wait -1
	global_inv scope:SCOPE_SE
	s_cbranch_scc1 .LBB7_23
; %bb.4:
	s_clause 0x1
	s_load_b64 s[18:19], s[0:1], 0x50
	s_load_b32 s5, s[0:1], 0x48
	s_mul_u64 s[8:9], s[8:9], s[14:15]
	v_dual_mov_b32 v6, 0x2004 :: v_dual_and_b32 v1, 31, v0
	v_mbcnt_lo_u32_b32 v5, -1, 0
	s_lshl_b64 s[8:9], s[8:9], 2
	s_lshl_b64 s[16:17], s[16:17], 2
	s_add_nc_u64 s[6:7], s[6:7], s[8:9]
	v_lshrrev_b32_e32 v4, 3, v0
	v_cmp_eq_u32_e64 s0, 0, v0
	v_mov_b32_e32 v7, 0x200c
	v_dual_mov_b32 v8, 0x2014 :: v_dual_mov_b32 v9, 0
	v_cmp_eq_u32_e64 s1, 0, v1
	v_lshl_or_b32 v10, v5, 2, 64
	s_mov_b32 s4, ttmp7
	s_wait_kmcnt 0x0
	s_mul_u64 s[8:9], s[18:19], s[14:15]
	v_mul_lo_u32 v11, v0, s5
	s_lshl_b64 s[8:9], s[8:9], 2
	s_cmp_gt_i32 s13, 1
	s_add_nc_u64 s[8:9], s[10:11], s[8:9]
	s_cselect_b32 s3, -1, 0
	s_add_nc_u64 s[8:9], s[8:9], s[16:17]
	s_lshl_b32 s14, s5, 8
	s_branch .LBB7_6
.LBB7_5:                                ;   in Loop: Header=BB7_6 Depth=1
	s_wait_alu 0xfffe
	s_or_b32 exec_lo, exec_lo, s5
	s_add_co_i32 s4, s4, 64
	s_wait_alu 0xfffe
	s_cmp_ge_i32 s4, s12
	s_cbranch_scc1 .LBB7_23
.LBB7_6:                                ; =>This Loop Header: Depth=1
                                        ;     Child Loop BB7_8 Depth 2
                                        ;     Child Loop BB7_22 Depth 2
	s_wait_alu 0xfffe
	s_ashr_i32 s5, s4, 31
	v_mov_b32_e32 v12, 0
	s_wait_alu 0xfffe
	s_lshl_b64 s[10:11], s[4:5], 2
	s_wait_alu 0xfffe
	s_add_nc_u64 s[10:11], s[8:9], s[10:11]
	s_and_saveexec_b32 s5, s2
	s_cbranch_execz .LBB7_10
; %bb.7:                                ;   in Loop: Header=BB7_6 Depth=1
	v_dual_mov_b32 v12, 0 :: v_dual_mov_b32 v1, v11
	v_dual_mov_b32 v13, v3 :: v_dual_mov_b32 v14, v0
	s_mov_b32 s15, 0
.LBB7_8:                                ;   Parent Loop BB7_6 Depth=1
                                        ; =>  This Inner Loop Header: Depth=2
	s_delay_alu instid0(VALU_DEP_2) | instskip(NEXT) | instid1(VALU_DEP_2)
	v_ashrrev_i32_e32 v2, 31, v1
	v_add_nc_u32_e32 v14, 0x100, v14
	s_delay_alu instid0(VALU_DEP_2) | instskip(SKIP_2) | instid1(VALU_DEP_2)
	v_lshlrev_b64_e32 v[15:16], 2, v[1:2]
	v_add_nc_u32_e32 v1, s14, v1
	s_wait_alu 0xfffe
	v_add_co_u32 v15, vcc_lo, s10, v15
	s_wait_alu 0xfffd
	s_delay_alu instid0(VALU_DEP_3)
	v_add_co_ci_u32_e64 v16, null, s11, v16, vcc_lo
	v_cmp_le_i32_e32 vcc_lo, s13, v14
	global_load_b32 v2, v[15:16], off
	ds_load_b32 v15, v13
	v_add_nc_u32_e32 v13, 0x400, v13
	s_or_b32 s15, vcc_lo, s15
	s_wait_loadcnt_dscnt 0x0
	v_fmac_f32_e32 v12, v15, v2
	s_wait_alu 0xfffe
	s_and_not1_b32 exec_lo, exec_lo, s15
	s_cbranch_execnz .LBB7_8
; %bb.9:                                ;   in Loop: Header=BB7_6 Depth=1
	s_or_b32 exec_lo, exec_lo, s15
.LBB7_10:                               ;   in Loop: Header=BB7_6 Depth=1
	s_wait_alu 0xfffe
	s_or_b32 exec_lo, exec_lo, s5
	s_delay_alu instid0(SALU_CYCLE_1)
	s_and_b32 vcc_lo, exec_lo, s3
	s_wait_alu 0xfffe
	s_cbranch_vccz .LBB7_17
; %bb.11:                               ;   in Loop: Header=BB7_6 Depth=1
	v_cmp_ne_u32_e32 vcc_lo, 31, v5
	s_wait_alu 0xfffd
	v_add_co_ci_u32_e64 v1, null, 0, v5, vcc_lo
	v_cmp_gt_u32_e32 vcc_lo, 30, v5
	s_delay_alu instid0(VALU_DEP_2)
	v_lshlrev_b32_e32 v1, 2, v1
	s_wait_alu 0xfffd
	v_cndmask_b32_e64 v2, 0, 2, vcc_lo
	v_cmp_gt_u32_e32 vcc_lo, 28, v5
	ds_bpermute_b32 v1, v1, v12
	v_add_lshl_u32 v2, v2, v5, 2
	s_wait_alu 0xfffd
	v_cndmask_b32_e64 v13, 0, 4, vcc_lo
	v_cmp_gt_u32_e32 vcc_lo, 24, v5
	s_delay_alu instid0(VALU_DEP_2)
	v_add_lshl_u32 v13, v13, v5, 2
	s_wait_dscnt 0x0
	v_add_f32_e32 v1, v12, v1
	ds_bpermute_b32 v2, v2, v1
	s_wait_dscnt 0x0
	v_add_f32_e32 v1, v1, v2
	ds_bpermute_b32 v2, v13, v1
	s_wait_alu 0xfffd
	v_cndmask_b32_e64 v13, 0, 8, vcc_lo
	s_wait_dscnt 0x0
	v_add_f32_e32 v1, v1, v2
	s_delay_alu instid0(VALU_DEP_2)
	v_add_lshl_u32 v2, v13, v5, 2
	ds_bpermute_b32 v2, v2, v1
	s_wait_dscnt 0x0
	v_add_f32_e32 v1, v1, v2
	ds_bpermute_b32 v2, v10, v1
	s_wait_dscnt 0x0
	v_add_f32_e32 v1, v1, v2
	s_and_saveexec_b32 s5, s1
; %bb.12:                               ;   in Loop: Header=BB7_6 Depth=1
	ds_store_b32 v4, v1 offset:8192
; %bb.13:                               ;   in Loop: Header=BB7_6 Depth=1
	s_wait_alu 0xfffe
	s_or_b32 exec_lo, exec_lo, s5
	s_mov_b32 s15, 0
	s_mov_b32 s5, 0
	s_wait_loadcnt_dscnt 0x0
	s_barrier_signal -1
	s_barrier_wait -1
	global_inv scope:SCOPE_SE
                                        ; implicit-def: $vgpr2
	s_and_saveexec_b32 s16, s0
	s_delay_alu instid0(SALU_CYCLE_1)
	s_xor_b32 s16, exec_lo, s16
	s_cbranch_execz .LBB7_15
; %bb.14:                               ;   in Loop: Header=BB7_6 Depth=1
	ds_load_2addr_b32 v[13:14], v6 offset1:1
	ds_load_2addr_b32 v[15:16], v7 offset1:1
	;; [unrolled: 1-line block ×3, first 2 shown]
	ds_load_b32 v2, v9 offset:8220
	s_mov_b32 s5, exec_lo
	s_wait_dscnt 0x3
	v_add_f32_e32 v1, v1, v13
	s_delay_alu instid0(VALU_DEP_1) | instskip(SKIP_1) | instid1(VALU_DEP_1)
	v_add_f32_e32 v1, v1, v14
	s_wait_dscnt 0x2
	v_add_f32_e32 v1, v1, v15
	s_delay_alu instid0(VALU_DEP_1) | instskip(SKIP_1) | instid1(VALU_DEP_1)
	v_add_f32_e32 v1, v1, v16
	;; [unrolled: 4-line block ×3, first 2 shown]
	s_wait_dscnt 0x0
	v_add_f32_e32 v2, v1, v2
.LBB7_15:                               ;   in Loop: Header=BB7_6 Depth=1
	s_or_b32 exec_lo, exec_lo, s16
	s_wait_alu 0xfffe
	s_and_b32 vcc_lo, exec_lo, s15
	s_wait_alu 0xfffe
	s_cbranch_vccnz .LBB7_18
.LBB7_16:                               ;   in Loop: Header=BB7_6 Depth=1
	v_mov_b32_e32 v12, v2
	s_wait_alu 0xfffe
	s_and_saveexec_b32 s15, s5
	s_cbranch_execnz .LBB7_19
	s_branch .LBB7_20
.LBB7_17:                               ;   in Loop: Header=BB7_6 Depth=1
	s_mov_b32 s5, 0
                                        ; implicit-def: $vgpr2
	s_cbranch_execz .LBB7_16
.LBB7_18:                               ;   in Loop: Header=BB7_6 Depth=1
	s_wait_alu 0xfffe
	s_and_not1_b32 s5, s5, exec_lo
	s_and_b32 s15, s0, exec_lo
	s_wait_alu 0xfffe
	s_or_b32 s5, s5, s15
	s_wait_alu 0xfffe
	s_and_saveexec_b32 s15, s5
.LBB7_19:                               ;   in Loop: Header=BB7_6 Depth=1
	ds_store_b32 v9, v12 offset:8192
.LBB7_20:                               ;   in Loop: Header=BB7_6 Depth=1
	s_wait_alu 0xfffe
	s_or_b32 exec_lo, exec_lo, s15
	s_wait_loadcnt_dscnt 0x0
	s_barrier_signal -1
	s_barrier_wait -1
	global_inv scope:SCOPE_SE
	s_and_saveexec_b32 s5, s2
	s_cbranch_execz .LBB7_5
; %bb.21:                               ;   in Loop: Header=BB7_6 Depth=1
	global_load_b32 v1, v9, s[6:7]
	ds_load_b32 v2, v9 offset:8192
	v_mov_b32_e32 v12, v3
	s_mov_b32 s15, 0
	v_mov_b32_e32 v14, v0
	s_wait_loadcnt 0x0
	v_xor_b32_e32 v13, 0x80000000, v1
	v_mov_b32_e32 v1, v11
	s_wait_dscnt 0x0
	s_delay_alu instid0(VALU_DEP_2)
	v_mul_f32_e32 v13, v2, v13
.LBB7_22:                               ;   Parent Loop BB7_6 Depth=1
                                        ; =>  This Inner Loop Header: Depth=2
	s_delay_alu instid0(VALU_DEP_2)
	v_ashrrev_i32_e32 v2, 31, v1
	ds_load_b32 v17, v12
	v_add_nc_u32_e32 v14, 0x100, v14
	v_add_nc_u32_e32 v12, 0x400, v12
	v_lshlrev_b64_e32 v[15:16], 2, v[1:2]
	v_add_nc_u32_e32 v1, s14, v1
	s_delay_alu instid0(VALU_DEP_2) | instskip(SKIP_1) | instid1(VALU_DEP_3)
	v_add_co_u32 v15, vcc_lo, s10, v15
	s_wait_alu 0xfffd
	v_add_co_ci_u32_e64 v16, null, s11, v16, vcc_lo
	v_cmp_le_i32_e32 vcc_lo, s13, v14
	global_load_b32 v2, v[15:16], off
	s_wait_alu 0xfffe
	s_or_b32 s15, vcc_lo, s15
	s_wait_loadcnt_dscnt 0x0
	v_fmac_f32_e32 v2, v13, v17
	global_store_b32 v[15:16], v2, off
	s_wait_alu 0xfffe
	s_and_not1_b32 exec_lo, exec_lo, s15
	s_cbranch_execnz .LBB7_22
	s_branch .LBB7_5
.LBB7_23:
	s_endpgm
	.section	.rodata,"a",@progbits
	.p2align	6, 0x0
	.amdhsa_kernel _ZN9rocsolver6v33100L23larf_right_kernel_smallILi256EfiPfEEvT1_S3_T2_lS3_lPKT0_lS4_lS3_l
		.amdhsa_group_segment_fixed_size 8224
		.amdhsa_private_segment_fixed_size 0
		.amdhsa_kernarg_size 88
		.amdhsa_user_sgpr_count 2
		.amdhsa_user_sgpr_dispatch_ptr 0
		.amdhsa_user_sgpr_queue_ptr 0
		.amdhsa_user_sgpr_kernarg_segment_ptr 1
		.amdhsa_user_sgpr_dispatch_id 0
		.amdhsa_user_sgpr_private_segment_size 0
		.amdhsa_wavefront_size32 1
		.amdhsa_uses_dynamic_stack 0
		.amdhsa_enable_private_segment 0
		.amdhsa_system_sgpr_workgroup_id_x 1
		.amdhsa_system_sgpr_workgroup_id_y 1
		.amdhsa_system_sgpr_workgroup_id_z 0
		.amdhsa_system_sgpr_workgroup_info 0
		.amdhsa_system_vgpr_workitem_id 0
		.amdhsa_next_free_vgpr 19
		.amdhsa_next_free_sgpr 26
		.amdhsa_reserve_vcc 1
		.amdhsa_float_round_mode_32 0
		.amdhsa_float_round_mode_16_64 0
		.amdhsa_float_denorm_mode_32 3
		.amdhsa_float_denorm_mode_16_64 3
		.amdhsa_fp16_overflow 0
		.amdhsa_workgroup_processor_mode 1
		.amdhsa_memory_ordered 1
		.amdhsa_forward_progress 1
		.amdhsa_inst_pref_size 11
		.amdhsa_round_robin_scheduling 0
		.amdhsa_exception_fp_ieee_invalid_op 0
		.amdhsa_exception_fp_denorm_src 0
		.amdhsa_exception_fp_ieee_div_zero 0
		.amdhsa_exception_fp_ieee_overflow 0
		.amdhsa_exception_fp_ieee_underflow 0
		.amdhsa_exception_fp_ieee_inexact 0
		.amdhsa_exception_int_div_zero 0
	.end_amdhsa_kernel
	.section	.text._ZN9rocsolver6v33100L23larf_right_kernel_smallILi256EfiPfEEvT1_S3_T2_lS3_lPKT0_lS4_lS3_l,"axG",@progbits,_ZN9rocsolver6v33100L23larf_right_kernel_smallILi256EfiPfEEvT1_S3_T2_lS3_lPKT0_lS4_lS3_l,comdat
.Lfunc_end7:
	.size	_ZN9rocsolver6v33100L23larf_right_kernel_smallILi256EfiPfEEvT1_S3_T2_lS3_lPKT0_lS4_lS3_l, .Lfunc_end7-_ZN9rocsolver6v33100L23larf_right_kernel_smallILi256EfiPfEEvT1_S3_T2_lS3_lPKT0_lS4_lS3_l
                                        ; -- End function
	.set _ZN9rocsolver6v33100L23larf_right_kernel_smallILi256EfiPfEEvT1_S3_T2_lS3_lPKT0_lS4_lS3_l.num_vgpr, 19
	.set _ZN9rocsolver6v33100L23larf_right_kernel_smallILi256EfiPfEEvT1_S3_T2_lS3_lPKT0_lS4_lS3_l.num_agpr, 0
	.set _ZN9rocsolver6v33100L23larf_right_kernel_smallILi256EfiPfEEvT1_S3_T2_lS3_lPKT0_lS4_lS3_l.numbered_sgpr, 26
	.set _ZN9rocsolver6v33100L23larf_right_kernel_smallILi256EfiPfEEvT1_S3_T2_lS3_lPKT0_lS4_lS3_l.num_named_barrier, 0
	.set _ZN9rocsolver6v33100L23larf_right_kernel_smallILi256EfiPfEEvT1_S3_T2_lS3_lPKT0_lS4_lS3_l.private_seg_size, 0
	.set _ZN9rocsolver6v33100L23larf_right_kernel_smallILi256EfiPfEEvT1_S3_T2_lS3_lPKT0_lS4_lS3_l.uses_vcc, 1
	.set _ZN9rocsolver6v33100L23larf_right_kernel_smallILi256EfiPfEEvT1_S3_T2_lS3_lPKT0_lS4_lS3_l.uses_flat_scratch, 0
	.set _ZN9rocsolver6v33100L23larf_right_kernel_smallILi256EfiPfEEvT1_S3_T2_lS3_lPKT0_lS4_lS3_l.has_dyn_sized_stack, 0
	.set _ZN9rocsolver6v33100L23larf_right_kernel_smallILi256EfiPfEEvT1_S3_T2_lS3_lPKT0_lS4_lS3_l.has_recursion, 0
	.set _ZN9rocsolver6v33100L23larf_right_kernel_smallILi256EfiPfEEvT1_S3_T2_lS3_lPKT0_lS4_lS3_l.has_indirect_call, 0
	.section	.AMDGPU.csdata,"",@progbits
; Kernel info:
; codeLenInByte = 1308
; TotalNumSgprs: 28
; NumVgprs: 19
; ScratchSize: 0
; MemoryBound: 0
; FloatMode: 240
; IeeeMode: 1
; LDSByteSize: 8224 bytes/workgroup (compile time only)
; SGPRBlocks: 0
; VGPRBlocks: 2
; NumSGPRsForWavesPerEU: 28
; NumVGPRsForWavesPerEU: 19
; Occupancy: 16
; WaveLimiterHint : 0
; COMPUTE_PGM_RSRC2:SCRATCH_EN: 0
; COMPUTE_PGM_RSRC2:USER_SGPR: 2
; COMPUTE_PGM_RSRC2:TRAP_HANDLER: 0
; COMPUTE_PGM_RSRC2:TGID_X_EN: 1
; COMPUTE_PGM_RSRC2:TGID_Y_EN: 1
; COMPUTE_PGM_RSRC2:TGID_Z_EN: 0
; COMPUTE_PGM_RSRC2:TIDIG_COMP_CNT: 0
	.section	.text._ZN9rocsolver6v33100L23larf_right_kernel_smallILi512EfiPfEEvT1_S3_T2_lS3_lPKT0_lS4_lS3_l,"axG",@progbits,_ZN9rocsolver6v33100L23larf_right_kernel_smallILi512EfiPfEEvT1_S3_T2_lS3_lPKT0_lS4_lS3_l,comdat
	.globl	_ZN9rocsolver6v33100L23larf_right_kernel_smallILi512EfiPfEEvT1_S3_T2_lS3_lPKT0_lS4_lS3_l ; -- Begin function _ZN9rocsolver6v33100L23larf_right_kernel_smallILi512EfiPfEEvT1_S3_T2_lS3_lPKT0_lS4_lS3_l
	.p2align	8
	.type	_ZN9rocsolver6v33100L23larf_right_kernel_smallILi512EfiPfEEvT1_S3_T2_lS3_lPKT0_lS4_lS3_l,@function
_ZN9rocsolver6v33100L23larf_right_kernel_smallILi512EfiPfEEvT1_S3_T2_lS3_lPKT0_lS4_lS3_l: ; @_ZN9rocsolver6v33100L23larf_right_kernel_smallILi512EfiPfEEvT1_S3_T2_lS3_lPKT0_lS4_lS3_l
; %bb.0:
	s_clause 0x2
	s_load_b64 s[12:13], s[0:1], 0x0
	s_load_b256 s[4:11], s[0:1], 0x20
	s_load_b64 s[16:17], s[0:1], 0x40
	v_lshlrev_b32_e32 v3, 2, v0
	s_mov_b32 s14, ttmp9
	s_ashr_i32 s15, ttmp9, 31
	s_wait_kmcnt 0x0
	v_cmp_gt_i32_e64 s2, s13, v0
	s_and_saveexec_b32 s3, s2
	s_cbranch_execz .LBB8_3
; %bb.1:
	s_clause 0x1
	s_load_b128 s[20:23], s[0:1], 0x8
	s_load_b32 s24, s[0:1], 0x18
	s_mul_u64 s[4:5], s[4:5], s[14:15]
	s_sub_co_i32 s25, 1, s13
	s_lshl_b64 s[4:5], s[4:5], 2
	v_dual_mov_b32 v5, v0 :: v_dual_lshlrev_b32 v4, 2, v0
	s_wait_kmcnt 0x0
	s_lshl_b64 s[18:19], s[22:23], 2
	s_mul_i32 s22, s24, s25
	s_cmp_lt_i32 s24, 1
	s_add_nc_u64 s[4:5], s[20:21], s[4:5]
	s_cselect_b32 s22, s22, 0
	s_add_nc_u64 s[4:5], s[4:5], s[18:19]
	v_mad_co_u64_u32 v[1:2], null, v0, s24, s[22:23]
	s_mov_b32 s18, 0
	s_lshl_b32 s19, s24, 9
.LBB8_2:                                ; =>This Inner Loop Header: Depth=1
	v_ashrrev_i32_e32 v2, 31, v1
	v_add_nc_u32_e32 v5, 0x200, v5
	s_delay_alu instid0(VALU_DEP_2) | instskip(SKIP_1) | instid1(VALU_DEP_2)
	v_lshlrev_b64_e32 v[6:7], 2, v[1:2]
	v_add_nc_u32_e32 v1, s19, v1
	v_add_co_u32 v6, vcc_lo, s4, v6
	s_wait_alu 0xfffd
	s_delay_alu instid0(VALU_DEP_3)
	v_add_co_ci_u32_e64 v7, null, s5, v7, vcc_lo
	v_cmp_le_i32_e32 vcc_lo, s13, v5
	global_load_b32 v2, v[6:7], off
	s_or_b32 s18, vcc_lo, s18
	s_wait_loadcnt 0x0
	ds_store_b32 v4, v2
	v_add_nc_u32_e32 v4, 0x800, v4
	s_wait_alu 0xfffe
	s_and_not1_b32 exec_lo, exec_lo, s18
	s_cbranch_execnz .LBB8_2
.LBB8_3:
	s_or_b32 exec_lo, exec_lo, s3
	s_cmp_ge_i32 ttmp7, s12
	s_wait_dscnt 0x0
	s_barrier_signal -1
	s_barrier_wait -1
	global_inv scope:SCOPE_SE
	s_cbranch_scc1 .LBB8_23
; %bb.4:
	s_clause 0x1
	s_load_b64 s[18:19], s[0:1], 0x50
	s_load_b32 s5, s[0:1], 0x48
	s_mul_u64 s[8:9], s[8:9], s[14:15]
	v_dual_mov_b32 v6, 0x2004 :: v_dual_and_b32 v1, 31, v0
	v_mbcnt_lo_u32_b32 v5, -1, 0
	s_lshl_b64 s[8:9], s[8:9], 2
	s_lshl_b64 s[16:17], s[16:17], 2
	s_add_nc_u64 s[6:7], s[6:7], s[8:9]
	v_lshrrev_b32_e32 v4, 3, v0
	v_cmp_eq_u32_e64 s0, 0, v0
	v_mov_b32_e32 v7, 0x200c
	v_dual_mov_b32 v8, 0x2014 :: v_dual_mov_b32 v13, 0
	v_mov_b32_e32 v9, 0x201c
	v_mov_b32_e32 v10, 0x2024
	v_mov_b32_e32 v11, 0x202c
	v_mov_b32_e32 v12, 0x2034
	v_cmp_eq_u32_e64 s1, 0, v1
	v_lshl_or_b32 v15, v5, 2, 64
	s_wait_kmcnt 0x0
	s_mul_u64 s[8:9], s[18:19], s[14:15]
	v_mul_lo_u32 v14, v0, s5
	s_lshl_b64 s[8:9], s[8:9], 2
	s_cmp_gt_i32 s13, 1
	s_add_nc_u64 s[8:9], s[10:11], s[8:9]
	s_mov_b32 s4, ttmp7
	s_add_nc_u64 s[8:9], s[8:9], s[16:17]
	s_cselect_b32 s3, -1, 0
	s_lshl_b32 s14, s5, 9
	s_branch .LBB8_6
.LBB8_5:                                ;   in Loop: Header=BB8_6 Depth=1
	s_wait_alu 0xfffe
	s_or_b32 exec_lo, exec_lo, s5
	s_add_co_i32 s4, s4, 64
	s_wait_alu 0xfffe
	s_cmp_ge_i32 s4, s12
	s_cbranch_scc1 .LBB8_23
.LBB8_6:                                ; =>This Loop Header: Depth=1
                                        ;     Child Loop BB8_8 Depth 2
                                        ;     Child Loop BB8_22 Depth 2
	s_wait_alu 0xfffe
	s_ashr_i32 s5, s4, 31
	v_mov_b32_e32 v16, 0
	s_wait_alu 0xfffe
	s_lshl_b64 s[10:11], s[4:5], 2
	s_wait_alu 0xfffe
	s_add_nc_u64 s[10:11], s[8:9], s[10:11]
	s_and_saveexec_b32 s5, s2
	s_cbranch_execz .LBB8_10
; %bb.7:                                ;   in Loop: Header=BB8_6 Depth=1
	v_dual_mov_b32 v16, 0 :: v_dual_mov_b32 v1, v14
	v_dual_mov_b32 v17, v3 :: v_dual_mov_b32 v18, v0
	s_mov_b32 s15, 0
.LBB8_8:                                ;   Parent Loop BB8_6 Depth=1
                                        ; =>  This Inner Loop Header: Depth=2
	s_delay_alu instid0(VALU_DEP_2) | instskip(NEXT) | instid1(VALU_DEP_2)
	v_ashrrev_i32_e32 v2, 31, v1
	v_add_nc_u32_e32 v18, 0x200, v18
	s_delay_alu instid0(VALU_DEP_2) | instskip(SKIP_2) | instid1(VALU_DEP_2)
	v_lshlrev_b64_e32 v[19:20], 2, v[1:2]
	v_add_nc_u32_e32 v1, s14, v1
	s_wait_alu 0xfffe
	v_add_co_u32 v19, vcc_lo, s10, v19
	s_wait_alu 0xfffd
	s_delay_alu instid0(VALU_DEP_3)
	v_add_co_ci_u32_e64 v20, null, s11, v20, vcc_lo
	v_cmp_le_i32_e32 vcc_lo, s13, v18
	global_load_b32 v2, v[19:20], off
	ds_load_b32 v19, v17
	v_add_nc_u32_e32 v17, 0x800, v17
	s_or_b32 s15, vcc_lo, s15
	s_wait_loadcnt_dscnt 0x0
	v_fmac_f32_e32 v16, v19, v2
	s_wait_alu 0xfffe
	s_and_not1_b32 exec_lo, exec_lo, s15
	s_cbranch_execnz .LBB8_8
; %bb.9:                                ;   in Loop: Header=BB8_6 Depth=1
	s_or_b32 exec_lo, exec_lo, s15
.LBB8_10:                               ;   in Loop: Header=BB8_6 Depth=1
	s_wait_alu 0xfffe
	s_or_b32 exec_lo, exec_lo, s5
	s_delay_alu instid0(SALU_CYCLE_1)
	s_and_b32 vcc_lo, exec_lo, s3
	s_wait_alu 0xfffe
	s_cbranch_vccz .LBB8_17
; %bb.11:                               ;   in Loop: Header=BB8_6 Depth=1
	v_cmp_ne_u32_e32 vcc_lo, 31, v5
	s_wait_alu 0xfffd
	v_add_co_ci_u32_e64 v1, null, 0, v5, vcc_lo
	v_cmp_gt_u32_e32 vcc_lo, 30, v5
	s_delay_alu instid0(VALU_DEP_2)
	v_lshlrev_b32_e32 v1, 2, v1
	s_wait_alu 0xfffd
	v_cndmask_b32_e64 v2, 0, 2, vcc_lo
	v_cmp_gt_u32_e32 vcc_lo, 28, v5
	ds_bpermute_b32 v1, v1, v16
	v_add_lshl_u32 v2, v2, v5, 2
	s_wait_alu 0xfffd
	v_cndmask_b32_e64 v17, 0, 4, vcc_lo
	v_cmp_gt_u32_e32 vcc_lo, 24, v5
	s_delay_alu instid0(VALU_DEP_2)
	v_add_lshl_u32 v17, v17, v5, 2
	s_wait_dscnt 0x0
	v_add_f32_e32 v1, v16, v1
	ds_bpermute_b32 v2, v2, v1
	s_wait_dscnt 0x0
	v_add_f32_e32 v1, v1, v2
	ds_bpermute_b32 v2, v17, v1
	s_wait_alu 0xfffd
	v_cndmask_b32_e64 v17, 0, 8, vcc_lo
	s_wait_dscnt 0x0
	v_add_f32_e32 v1, v1, v2
	s_delay_alu instid0(VALU_DEP_2)
	v_add_lshl_u32 v2, v17, v5, 2
	ds_bpermute_b32 v2, v2, v1
	s_wait_dscnt 0x0
	v_add_f32_e32 v1, v1, v2
	ds_bpermute_b32 v2, v15, v1
	s_wait_dscnt 0x0
	v_add_f32_e32 v1, v1, v2
	s_and_saveexec_b32 s5, s1
; %bb.12:                               ;   in Loop: Header=BB8_6 Depth=1
	ds_store_b32 v4, v1 offset:8192
; %bb.13:                               ;   in Loop: Header=BB8_6 Depth=1
	s_wait_alu 0xfffe
	s_or_b32 exec_lo, exec_lo, s5
	s_mov_b32 s15, 0
	s_mov_b32 s5, 0
	s_wait_loadcnt_dscnt 0x0
	s_barrier_signal -1
	s_barrier_wait -1
	global_inv scope:SCOPE_SE
                                        ; implicit-def: $vgpr2
	s_and_saveexec_b32 s16, s0
	s_delay_alu instid0(SALU_CYCLE_1)
	s_xor_b32 s16, exec_lo, s16
	s_cbranch_execz .LBB8_15
; %bb.14:                               ;   in Loop: Header=BB8_6 Depth=1
	ds_load_2addr_b32 v[17:18], v6 offset1:1
	ds_load_2addr_b32 v[19:20], v7 offset1:1
	ds_load_2addr_b32 v[21:22], v8 offset1:1
	ds_load_2addr_b32 v[23:24], v9 offset1:1
	s_mov_b32 s5, exec_lo
	s_wait_dscnt 0x3
	v_add_f32_e32 v1, v1, v17
	s_delay_alu instid0(VALU_DEP_1) | instskip(SKIP_1) | instid1(VALU_DEP_1)
	v_add_f32_e32 v1, v1, v18
	s_wait_dscnt 0x2
	v_add_f32_e32 v1, v1, v19
	s_delay_alu instid0(VALU_DEP_1) | instskip(SKIP_1) | instid1(VALU_DEP_1)
	v_add_f32_e32 v1, v1, v20
	s_wait_dscnt 0x1
	v_add_f32_e32 v17, v1, v21
	ds_load_2addr_b32 v[1:2], v10 offset1:1
	v_add_f32_e32 v17, v17, v22
	s_wait_dscnt 0x1
	s_delay_alu instid0(VALU_DEP_1)
	v_add_f32_e32 v19, v17, v23
	ds_load_2addr_b32 v[17:18], v11 offset1:1
	v_add_f32_e32 v21, v19, v24
	ds_load_2addr_b32 v[19:20], v12 offset1:1
	ds_load_b32 v22, v13 offset:8252
	s_wait_dscnt 0x3
	v_add_f32_e32 v1, v21, v1
	s_delay_alu instid0(VALU_DEP_1) | instskip(SKIP_1) | instid1(VALU_DEP_1)
	v_add_f32_e32 v1, v1, v2
	s_wait_dscnt 0x2
	v_add_f32_e32 v1, v1, v17
	s_delay_alu instid0(VALU_DEP_1) | instskip(SKIP_1) | instid1(VALU_DEP_1)
	v_add_f32_e32 v1, v1, v18
	;; [unrolled: 4-line block ×3, first 2 shown]
	s_wait_dscnt 0x0
	v_add_f32_e32 v2, v1, v22
.LBB8_15:                               ;   in Loop: Header=BB8_6 Depth=1
	s_or_b32 exec_lo, exec_lo, s16
	s_wait_alu 0xfffe
	s_and_b32 vcc_lo, exec_lo, s15
	s_wait_alu 0xfffe
	s_cbranch_vccnz .LBB8_18
.LBB8_16:                               ;   in Loop: Header=BB8_6 Depth=1
	v_mov_b32_e32 v16, v2
	s_wait_alu 0xfffe
	s_and_saveexec_b32 s15, s5
	s_cbranch_execnz .LBB8_19
	s_branch .LBB8_20
.LBB8_17:                               ;   in Loop: Header=BB8_6 Depth=1
	s_mov_b32 s5, 0
                                        ; implicit-def: $vgpr2
	s_cbranch_execz .LBB8_16
.LBB8_18:                               ;   in Loop: Header=BB8_6 Depth=1
	s_wait_alu 0xfffe
	s_and_not1_b32 s5, s5, exec_lo
	s_and_b32 s15, s0, exec_lo
	s_wait_alu 0xfffe
	s_or_b32 s5, s5, s15
	s_wait_alu 0xfffe
	s_and_saveexec_b32 s15, s5
.LBB8_19:                               ;   in Loop: Header=BB8_6 Depth=1
	ds_store_b32 v13, v16 offset:8192
.LBB8_20:                               ;   in Loop: Header=BB8_6 Depth=1
	s_wait_alu 0xfffe
	s_or_b32 exec_lo, exec_lo, s15
	s_wait_loadcnt_dscnt 0x0
	s_barrier_signal -1
	s_barrier_wait -1
	global_inv scope:SCOPE_SE
	s_and_saveexec_b32 s5, s2
	s_cbranch_execz .LBB8_5
; %bb.21:                               ;   in Loop: Header=BB8_6 Depth=1
	global_load_b32 v1, v13, s[6:7]
	ds_load_b32 v2, v13 offset:8192
	v_mov_b32_e32 v16, v3
	s_mov_b32 s15, 0
	v_mov_b32_e32 v18, v0
	s_wait_loadcnt 0x0
	v_xor_b32_e32 v17, 0x80000000, v1
	v_mov_b32_e32 v1, v14
	s_wait_dscnt 0x0
	s_delay_alu instid0(VALU_DEP_2)
	v_mul_f32_e32 v17, v2, v17
.LBB8_22:                               ;   Parent Loop BB8_6 Depth=1
                                        ; =>  This Inner Loop Header: Depth=2
	s_delay_alu instid0(VALU_DEP_2)
	v_ashrrev_i32_e32 v2, 31, v1
	ds_load_b32 v21, v16
	v_add_nc_u32_e32 v18, 0x200, v18
	v_add_nc_u32_e32 v16, 0x800, v16
	v_lshlrev_b64_e32 v[19:20], 2, v[1:2]
	v_add_nc_u32_e32 v1, s14, v1
	s_delay_alu instid0(VALU_DEP_2) | instskip(SKIP_1) | instid1(VALU_DEP_3)
	v_add_co_u32 v19, vcc_lo, s10, v19
	s_wait_alu 0xfffd
	v_add_co_ci_u32_e64 v20, null, s11, v20, vcc_lo
	v_cmp_le_i32_e32 vcc_lo, s13, v18
	global_load_b32 v2, v[19:20], off
	s_wait_alu 0xfffe
	s_or_b32 s15, vcc_lo, s15
	s_wait_loadcnt_dscnt 0x0
	v_fmac_f32_e32 v2, v17, v21
	global_store_b32 v[19:20], v2, off
	s_wait_alu 0xfffe
	s_and_not1_b32 exec_lo, exec_lo, s15
	s_cbranch_execnz .LBB8_22
	s_branch .LBB8_5
.LBB8_23:
	s_endpgm
	.section	.rodata,"a",@progbits
	.p2align	6, 0x0
	.amdhsa_kernel _ZN9rocsolver6v33100L23larf_right_kernel_smallILi512EfiPfEEvT1_S3_T2_lS3_lPKT0_lS4_lS3_l
		.amdhsa_group_segment_fixed_size 8256
		.amdhsa_private_segment_fixed_size 0
		.amdhsa_kernarg_size 88
		.amdhsa_user_sgpr_count 2
		.amdhsa_user_sgpr_dispatch_ptr 0
		.amdhsa_user_sgpr_queue_ptr 0
		.amdhsa_user_sgpr_kernarg_segment_ptr 1
		.amdhsa_user_sgpr_dispatch_id 0
		.amdhsa_user_sgpr_private_segment_size 0
		.amdhsa_wavefront_size32 1
		.amdhsa_uses_dynamic_stack 0
		.amdhsa_enable_private_segment 0
		.amdhsa_system_sgpr_workgroup_id_x 1
		.amdhsa_system_sgpr_workgroup_id_y 1
		.amdhsa_system_sgpr_workgroup_id_z 0
		.amdhsa_system_sgpr_workgroup_info 0
		.amdhsa_system_vgpr_workitem_id 0
		.amdhsa_next_free_vgpr 25
		.amdhsa_next_free_sgpr 26
		.amdhsa_reserve_vcc 1
		.amdhsa_float_round_mode_32 0
		.amdhsa_float_round_mode_16_64 0
		.amdhsa_float_denorm_mode_32 3
		.amdhsa_float_denorm_mode_16_64 3
		.amdhsa_fp16_overflow 0
		.amdhsa_workgroup_processor_mode 1
		.amdhsa_memory_ordered 1
		.amdhsa_forward_progress 1
		.amdhsa_inst_pref_size 12
		.amdhsa_round_robin_scheduling 0
		.amdhsa_exception_fp_ieee_invalid_op 0
		.amdhsa_exception_fp_denorm_src 0
		.amdhsa_exception_fp_ieee_div_zero 0
		.amdhsa_exception_fp_ieee_overflow 0
		.amdhsa_exception_fp_ieee_underflow 0
		.amdhsa_exception_fp_ieee_inexact 0
		.amdhsa_exception_int_div_zero 0
	.end_amdhsa_kernel
	.section	.text._ZN9rocsolver6v33100L23larf_right_kernel_smallILi512EfiPfEEvT1_S3_T2_lS3_lPKT0_lS4_lS3_l,"axG",@progbits,_ZN9rocsolver6v33100L23larf_right_kernel_smallILi512EfiPfEEvT1_S3_T2_lS3_lPKT0_lS4_lS3_l,comdat
.Lfunc_end8:
	.size	_ZN9rocsolver6v33100L23larf_right_kernel_smallILi512EfiPfEEvT1_S3_T2_lS3_lPKT0_lS4_lS3_l, .Lfunc_end8-_ZN9rocsolver6v33100L23larf_right_kernel_smallILi512EfiPfEEvT1_S3_T2_lS3_lPKT0_lS4_lS3_l
                                        ; -- End function
	.set _ZN9rocsolver6v33100L23larf_right_kernel_smallILi512EfiPfEEvT1_S3_T2_lS3_lPKT0_lS4_lS3_l.num_vgpr, 25
	.set _ZN9rocsolver6v33100L23larf_right_kernel_smallILi512EfiPfEEvT1_S3_T2_lS3_lPKT0_lS4_lS3_l.num_agpr, 0
	.set _ZN9rocsolver6v33100L23larf_right_kernel_smallILi512EfiPfEEvT1_S3_T2_lS3_lPKT0_lS4_lS3_l.numbered_sgpr, 26
	.set _ZN9rocsolver6v33100L23larf_right_kernel_smallILi512EfiPfEEvT1_S3_T2_lS3_lPKT0_lS4_lS3_l.num_named_barrier, 0
	.set _ZN9rocsolver6v33100L23larf_right_kernel_smallILi512EfiPfEEvT1_S3_T2_lS3_lPKT0_lS4_lS3_l.private_seg_size, 0
	.set _ZN9rocsolver6v33100L23larf_right_kernel_smallILi512EfiPfEEvT1_S3_T2_lS3_lPKT0_lS4_lS3_l.uses_vcc, 1
	.set _ZN9rocsolver6v33100L23larf_right_kernel_smallILi512EfiPfEEvT1_S3_T2_lS3_lPKT0_lS4_lS3_l.uses_flat_scratch, 0
	.set _ZN9rocsolver6v33100L23larf_right_kernel_smallILi512EfiPfEEvT1_S3_T2_lS3_lPKT0_lS4_lS3_l.has_dyn_sized_stack, 0
	.set _ZN9rocsolver6v33100L23larf_right_kernel_smallILi512EfiPfEEvT1_S3_T2_lS3_lPKT0_lS4_lS3_l.has_recursion, 0
	.set _ZN9rocsolver6v33100L23larf_right_kernel_smallILi512EfiPfEEvT1_S3_T2_lS3_lPKT0_lS4_lS3_l.has_indirect_call, 0
	.section	.AMDGPU.csdata,"",@progbits
; Kernel info:
; codeLenInByte = 1432
; TotalNumSgprs: 28
; NumVgprs: 25
; ScratchSize: 0
; MemoryBound: 0
; FloatMode: 240
; IeeeMode: 1
; LDSByteSize: 8256 bytes/workgroup (compile time only)
; SGPRBlocks: 0
; VGPRBlocks: 3
; NumSGPRsForWavesPerEU: 28
; NumVGPRsForWavesPerEU: 25
; Occupancy: 16
; WaveLimiterHint : 0
; COMPUTE_PGM_RSRC2:SCRATCH_EN: 0
; COMPUTE_PGM_RSRC2:USER_SGPR: 2
; COMPUTE_PGM_RSRC2:TRAP_HANDLER: 0
; COMPUTE_PGM_RSRC2:TGID_X_EN: 1
; COMPUTE_PGM_RSRC2:TGID_Y_EN: 1
; COMPUTE_PGM_RSRC2:TGID_Z_EN: 0
; COMPUTE_PGM_RSRC2:TIDIG_COMP_CNT: 0
	.section	.text._ZN9rocsolver6v33100L23larf_right_kernel_smallILi1024EfiPfEEvT1_S3_T2_lS3_lPKT0_lS4_lS3_l,"axG",@progbits,_ZN9rocsolver6v33100L23larf_right_kernel_smallILi1024EfiPfEEvT1_S3_T2_lS3_lPKT0_lS4_lS3_l,comdat
	.globl	_ZN9rocsolver6v33100L23larf_right_kernel_smallILi1024EfiPfEEvT1_S3_T2_lS3_lPKT0_lS4_lS3_l ; -- Begin function _ZN9rocsolver6v33100L23larf_right_kernel_smallILi1024EfiPfEEvT1_S3_T2_lS3_lPKT0_lS4_lS3_l
	.p2align	8
	.type	_ZN9rocsolver6v33100L23larf_right_kernel_smallILi1024EfiPfEEvT1_S3_T2_lS3_lPKT0_lS4_lS3_l,@function
_ZN9rocsolver6v33100L23larf_right_kernel_smallILi1024EfiPfEEvT1_S3_T2_lS3_lPKT0_lS4_lS3_l: ; @_ZN9rocsolver6v33100L23larf_right_kernel_smallILi1024EfiPfEEvT1_S3_T2_lS3_lPKT0_lS4_lS3_l
; %bb.0:
	s_clause 0x2
	s_load_b64 s[12:13], s[0:1], 0x0
	s_load_b256 s[4:11], s[0:1], 0x20
	s_load_b64 s[16:17], s[0:1], 0x40
	v_lshlrev_b32_e32 v3, 2, v0
	s_mov_b32 s14, ttmp9
	s_ashr_i32 s15, ttmp9, 31
	s_wait_kmcnt 0x0
	v_cmp_gt_i32_e64 s2, s13, v0
	s_and_saveexec_b32 s3, s2
	s_cbranch_execz .LBB9_3
; %bb.1:
	s_clause 0x1
	s_load_b128 s[20:23], s[0:1], 0x8
	s_load_b32 s24, s[0:1], 0x18
	s_mul_u64 s[4:5], s[4:5], s[14:15]
	s_sub_co_i32 s25, 1, s13
	s_lshl_b64 s[4:5], s[4:5], 2
	v_dual_mov_b32 v5, v0 :: v_dual_lshlrev_b32 v4, 2, v0
	s_wait_kmcnt 0x0
	s_lshl_b64 s[18:19], s[22:23], 2
	s_mul_i32 s22, s24, s25
	s_cmp_lt_i32 s24, 1
	s_add_nc_u64 s[4:5], s[20:21], s[4:5]
	s_cselect_b32 s22, s22, 0
	s_add_nc_u64 s[4:5], s[4:5], s[18:19]
	v_mad_co_u64_u32 v[1:2], null, v0, s24, s[22:23]
	s_mov_b32 s18, 0
	s_lshl_b32 s19, s24, 10
.LBB9_2:                                ; =>This Inner Loop Header: Depth=1
	v_ashrrev_i32_e32 v2, 31, v1
	v_add_nc_u32_e32 v5, 0x400, v5
	s_delay_alu instid0(VALU_DEP_2) | instskip(SKIP_1) | instid1(VALU_DEP_2)
	v_lshlrev_b64_e32 v[6:7], 2, v[1:2]
	v_add_nc_u32_e32 v1, s19, v1
	v_add_co_u32 v6, vcc_lo, s4, v6
	s_wait_alu 0xfffd
	s_delay_alu instid0(VALU_DEP_3)
	v_add_co_ci_u32_e64 v7, null, s5, v7, vcc_lo
	v_cmp_le_i32_e32 vcc_lo, s13, v5
	global_load_b32 v2, v[6:7], off
	s_or_b32 s18, vcc_lo, s18
	s_wait_loadcnt 0x0
	ds_store_b32 v4, v2
	v_add_nc_u32_e32 v4, 0x1000, v4
	s_wait_alu 0xfffe
	s_and_not1_b32 exec_lo, exec_lo, s18
	s_cbranch_execnz .LBB9_2
.LBB9_3:
	s_or_b32 exec_lo, exec_lo, s3
	s_cmp_ge_i32 ttmp7, s12
	s_wait_dscnt 0x0
	s_barrier_signal -1
	s_barrier_wait -1
	global_inv scope:SCOPE_SE
	s_cbranch_scc1 .LBB9_23
; %bb.4:
	s_clause 0x1
	s_load_b64 s[18:19], s[0:1], 0x50
	s_load_b32 s5, s[0:1], 0x48
	s_mul_u64 s[8:9], s[8:9], s[14:15]
	v_dual_mov_b32 v6, 0x2004 :: v_dual_and_b32 v1, 31, v0
	v_mbcnt_lo_u32_b32 v5, -1, 0
	s_lshl_b64 s[20:21], s[8:9], 2
	s_lshl_b64 s[16:17], s[16:17], 2
	v_lshrrev_b32_e32 v4, 3, v0
	v_cmp_eq_u32_e64 s0, 0, v0
	v_mov_b32_e32 v7, 0x200c
	v_dual_mov_b32 v8, 0x2014 :: v_dual_mov_b32 v23, 0
	v_mov_b32_e32 v9, 0x201c
	v_mov_b32_e32 v10, 0x2024
	;; [unrolled: 1-line block ×6, first 2 shown]
	v_cmp_eq_u32_e64 s1, 0, v1
	s_wait_kmcnt 0x0
	s_mul_u64 s[8:9], s[18:19], s[14:15]
	v_mul_lo_u32 v16, v0, s5
	s_lshl_b64 s[8:9], s[8:9], 2
	v_lshl_or_b32 v15, v5, 2, 64
	v_mov_b32_e32 v17, 0x204c
	v_mov_b32_e32 v18, 0x2054
	;; [unrolled: 1-line block ×6, first 2 shown]
	s_add_nc_u64 s[8:9], s[10:11], s[8:9]
	s_cmp_gt_i32 s13, 1
	s_mov_b32 s4, ttmp7
	s_add_nc_u64 s[8:9], s[8:9], s[16:17]
	s_add_nc_u64 s[6:7], s[6:7], s[20:21]
	s_cselect_b32 s3, -1, 0
	s_lshl_b32 s14, s5, 10
	s_branch .LBB9_6
.LBB9_5:                                ;   in Loop: Header=BB9_6 Depth=1
	s_wait_alu 0xfffe
	s_or_b32 exec_lo, exec_lo, s5
	s_add_co_i32 s4, s4, 64
	s_wait_alu 0xfffe
	s_cmp_ge_i32 s4, s12
	s_cbranch_scc1 .LBB9_23
.LBB9_6:                                ; =>This Loop Header: Depth=1
                                        ;     Child Loop BB9_8 Depth 2
                                        ;     Child Loop BB9_22 Depth 2
	s_wait_alu 0xfffe
	s_ashr_i32 s5, s4, 31
	v_mov_b32_e32 v24, 0
	s_wait_alu 0xfffe
	s_lshl_b64 s[10:11], s[4:5], 2
	s_wait_alu 0xfffe
	s_add_nc_u64 s[10:11], s[8:9], s[10:11]
	s_and_saveexec_b32 s5, s2
	s_cbranch_execz .LBB9_10
; %bb.7:                                ;   in Loop: Header=BB9_6 Depth=1
	v_dual_mov_b32 v24, 0 :: v_dual_mov_b32 v1, v16
	v_dual_mov_b32 v25, v3 :: v_dual_mov_b32 v26, v0
	s_mov_b32 s15, 0
.LBB9_8:                                ;   Parent Loop BB9_6 Depth=1
                                        ; =>  This Inner Loop Header: Depth=2
	s_delay_alu instid0(VALU_DEP_2) | instskip(NEXT) | instid1(VALU_DEP_2)
	v_ashrrev_i32_e32 v2, 31, v1
	v_add_nc_u32_e32 v26, 0x400, v26
	s_delay_alu instid0(VALU_DEP_2) | instskip(SKIP_2) | instid1(VALU_DEP_2)
	v_lshlrev_b64_e32 v[27:28], 2, v[1:2]
	v_add_nc_u32_e32 v1, s14, v1
	s_wait_alu 0xfffe
	v_add_co_u32 v27, vcc_lo, s10, v27
	s_wait_alu 0xfffd
	s_delay_alu instid0(VALU_DEP_3)
	v_add_co_ci_u32_e64 v28, null, s11, v28, vcc_lo
	v_cmp_le_i32_e32 vcc_lo, s13, v26
	global_load_b32 v2, v[27:28], off
	ds_load_b32 v27, v25
	v_add_nc_u32_e32 v25, 0x1000, v25
	s_or_b32 s15, vcc_lo, s15
	s_wait_loadcnt_dscnt 0x0
	v_fmac_f32_e32 v24, v27, v2
	s_wait_alu 0xfffe
	s_and_not1_b32 exec_lo, exec_lo, s15
	s_cbranch_execnz .LBB9_8
; %bb.9:                                ;   in Loop: Header=BB9_6 Depth=1
	s_or_b32 exec_lo, exec_lo, s15
.LBB9_10:                               ;   in Loop: Header=BB9_6 Depth=1
	s_wait_alu 0xfffe
	s_or_b32 exec_lo, exec_lo, s5
	s_delay_alu instid0(SALU_CYCLE_1)
	s_and_b32 vcc_lo, exec_lo, s3
	s_wait_alu 0xfffe
	s_cbranch_vccz .LBB9_17
; %bb.11:                               ;   in Loop: Header=BB9_6 Depth=1
	v_cmp_ne_u32_e32 vcc_lo, 31, v5
	s_wait_alu 0xfffd
	v_add_co_ci_u32_e64 v1, null, 0, v5, vcc_lo
	v_cmp_gt_u32_e32 vcc_lo, 30, v5
	s_delay_alu instid0(VALU_DEP_2)
	v_lshlrev_b32_e32 v1, 2, v1
	s_wait_alu 0xfffd
	v_cndmask_b32_e64 v2, 0, 2, vcc_lo
	v_cmp_gt_u32_e32 vcc_lo, 28, v5
	ds_bpermute_b32 v1, v1, v24
	v_add_lshl_u32 v2, v2, v5, 2
	s_wait_alu 0xfffd
	v_cndmask_b32_e64 v25, 0, 4, vcc_lo
	v_cmp_gt_u32_e32 vcc_lo, 24, v5
	s_delay_alu instid0(VALU_DEP_2)
	v_add_lshl_u32 v25, v25, v5, 2
	s_wait_dscnt 0x0
	v_add_f32_e32 v1, v24, v1
	ds_bpermute_b32 v2, v2, v1
	s_wait_dscnt 0x0
	v_add_f32_e32 v1, v1, v2
	ds_bpermute_b32 v2, v25, v1
	s_wait_alu 0xfffd
	v_cndmask_b32_e64 v25, 0, 8, vcc_lo
	s_wait_dscnt 0x0
	v_add_f32_e32 v1, v1, v2
	s_delay_alu instid0(VALU_DEP_2)
	v_add_lshl_u32 v2, v25, v5, 2
	ds_bpermute_b32 v2, v2, v1
	s_wait_dscnt 0x0
	v_add_f32_e32 v1, v1, v2
	ds_bpermute_b32 v2, v15, v1
	s_wait_dscnt 0x0
	v_add_f32_e32 v1, v1, v2
	s_and_saveexec_b32 s5, s1
; %bb.12:                               ;   in Loop: Header=BB9_6 Depth=1
	ds_store_b32 v4, v1 offset:8192
; %bb.13:                               ;   in Loop: Header=BB9_6 Depth=1
	s_wait_alu 0xfffe
	s_or_b32 exec_lo, exec_lo, s5
	s_mov_b32 s15, 0
	s_mov_b32 s5, 0
	s_wait_loadcnt_dscnt 0x0
	s_barrier_signal -1
	s_barrier_wait -1
	global_inv scope:SCOPE_SE
                                        ; implicit-def: $vgpr2
	s_and_saveexec_b32 s16, s0
	s_delay_alu instid0(SALU_CYCLE_1)
	s_xor_b32 s16, exec_lo, s16
	s_cbranch_execz .LBB9_15
; %bb.14:                               ;   in Loop: Header=BB9_6 Depth=1
	ds_load_2addr_b32 v[25:26], v6 offset1:1
	ds_load_2addr_b32 v[27:28], v7 offset1:1
	;; [unrolled: 1-line block ×4, first 2 shown]
	s_mov_b32 s5, exec_lo
	s_wait_dscnt 0x3
	v_add_f32_e32 v1, v1, v25
	s_delay_alu instid0(VALU_DEP_1) | instskip(SKIP_1) | instid1(VALU_DEP_1)
	v_add_f32_e32 v1, v1, v26
	s_wait_dscnt 0x2
	v_add_f32_e32 v1, v1, v27
	s_delay_alu instid0(VALU_DEP_1) | instskip(SKIP_3) | instid1(VALU_DEP_1)
	v_add_f32_e32 v25, v1, v28
	ds_load_2addr_b32 v[1:2], v10 offset1:1
	s_wait_dscnt 0x2
	v_add_f32_e32 v25, v25, v29
	v_add_f32_e32 v27, v25, v30
	ds_load_2addr_b32 v[25:26], v11 offset1:1
	s_wait_dscnt 0x2
	v_add_f32_e32 v27, v27, v31
	s_delay_alu instid0(VALU_DEP_1) | instskip(SKIP_4) | instid1(VALU_DEP_1)
	v_add_f32_e32 v31, v27, v32
	ds_load_2addr_b32 v[27:28], v12 offset1:1
	ds_load_2addr_b32 v[29:30], v13 offset1:1
	s_wait_dscnt 0x3
	v_add_f32_e32 v1, v31, v1
	v_add_f32_e32 v1, v1, v2
	s_wait_dscnt 0x2
	s_delay_alu instid0(VALU_DEP_1) | instskip(NEXT) | instid1(VALU_DEP_1)
	v_add_f32_e32 v1, v1, v25
	v_add_f32_e32 v25, v1, v26
	ds_load_2addr_b32 v[1:2], v14 offset1:1
	s_wait_dscnt 0x2
	v_add_f32_e32 v25, v25, v27
	s_delay_alu instid0(VALU_DEP_1) | instskip(SKIP_3) | instid1(VALU_DEP_1)
	v_add_f32_e32 v27, v25, v28
	ds_load_2addr_b32 v[25:26], v17 offset1:1
	s_wait_dscnt 0x2
	v_add_f32_e32 v27, v27, v29
	v_add_f32_e32 v31, v27, v30
	ds_load_2addr_b32 v[27:28], v18 offset1:1
	ds_load_2addr_b32 v[29:30], v19 offset1:1
	s_wait_dscnt 0x3
	v_add_f32_e32 v1, v31, v1
	s_delay_alu instid0(VALU_DEP_1) | instskip(SKIP_1) | instid1(VALU_DEP_1)
	v_add_f32_e32 v1, v1, v2
	s_wait_dscnt 0x2
	v_add_f32_e32 v1, v1, v25
	s_delay_alu instid0(VALU_DEP_1) | instskip(SKIP_1) | instid1(VALU_DEP_1)
	v_add_f32_e32 v1, v1, v26
	s_wait_dscnt 0x1
	v_add_f32_e32 v25, v1, v27
	ds_load_2addr_b32 v[1:2], v20 offset1:1
	v_add_f32_e32 v25, v25, v28
	s_wait_dscnt 0x1
	s_delay_alu instid0(VALU_DEP_1)
	v_add_f32_e32 v27, v25, v29
	ds_load_2addr_b32 v[25:26], v21 offset1:1
	v_add_f32_e32 v29, v27, v30
	ds_load_2addr_b32 v[27:28], v22 offset1:1
	ds_load_b32 v30, v23 offset:8316
	s_wait_dscnt 0x3
	v_add_f32_e32 v1, v29, v1
	s_delay_alu instid0(VALU_DEP_1) | instskip(SKIP_1) | instid1(VALU_DEP_1)
	v_add_f32_e32 v1, v1, v2
	s_wait_dscnt 0x2
	v_add_f32_e32 v1, v1, v25
	s_delay_alu instid0(VALU_DEP_1) | instskip(SKIP_1) | instid1(VALU_DEP_1)
	v_add_f32_e32 v1, v1, v26
	;; [unrolled: 4-line block ×3, first 2 shown]
	s_wait_dscnt 0x0
	v_add_f32_e32 v2, v1, v30
.LBB9_15:                               ;   in Loop: Header=BB9_6 Depth=1
	s_or_b32 exec_lo, exec_lo, s16
	s_wait_alu 0xfffe
	s_and_b32 vcc_lo, exec_lo, s15
	s_wait_alu 0xfffe
	s_cbranch_vccnz .LBB9_18
.LBB9_16:                               ;   in Loop: Header=BB9_6 Depth=1
	v_mov_b32_e32 v24, v2
	s_wait_alu 0xfffe
	s_and_saveexec_b32 s15, s5
	s_cbranch_execnz .LBB9_19
	s_branch .LBB9_20
.LBB9_17:                               ;   in Loop: Header=BB9_6 Depth=1
	s_mov_b32 s5, 0
                                        ; implicit-def: $vgpr2
	s_cbranch_execz .LBB9_16
.LBB9_18:                               ;   in Loop: Header=BB9_6 Depth=1
	s_wait_alu 0xfffe
	s_and_not1_b32 s5, s5, exec_lo
	s_and_b32 s15, s0, exec_lo
	s_wait_alu 0xfffe
	s_or_b32 s5, s5, s15
	s_wait_alu 0xfffe
	s_and_saveexec_b32 s15, s5
.LBB9_19:                               ;   in Loop: Header=BB9_6 Depth=1
	ds_store_b32 v23, v24 offset:8192
.LBB9_20:                               ;   in Loop: Header=BB9_6 Depth=1
	s_wait_alu 0xfffe
	s_or_b32 exec_lo, exec_lo, s15
	s_wait_loadcnt_dscnt 0x0
	s_barrier_signal -1
	s_barrier_wait -1
	global_inv scope:SCOPE_SE
	s_and_saveexec_b32 s5, s2
	s_cbranch_execz .LBB9_5
; %bb.21:                               ;   in Loop: Header=BB9_6 Depth=1
	global_load_b32 v1, v23, s[6:7]
	ds_load_b32 v2, v23 offset:8192
	v_mov_b32_e32 v24, v3
	s_mov_b32 s15, 0
	v_mov_b32_e32 v26, v0
	s_wait_loadcnt 0x0
	v_xor_b32_e32 v25, 0x80000000, v1
	v_mov_b32_e32 v1, v16
	s_wait_dscnt 0x0
	s_delay_alu instid0(VALU_DEP_2)
	v_mul_f32_e32 v25, v2, v25
.LBB9_22:                               ;   Parent Loop BB9_6 Depth=1
                                        ; =>  This Inner Loop Header: Depth=2
	s_delay_alu instid0(VALU_DEP_2)
	v_ashrrev_i32_e32 v2, 31, v1
	ds_load_b32 v29, v24
	v_add_nc_u32_e32 v26, 0x400, v26
	v_add_nc_u32_e32 v24, 0x1000, v24
	v_lshlrev_b64_e32 v[27:28], 2, v[1:2]
	v_add_nc_u32_e32 v1, s14, v1
	s_delay_alu instid0(VALU_DEP_2) | instskip(SKIP_1) | instid1(VALU_DEP_3)
	v_add_co_u32 v27, vcc_lo, s10, v27
	s_wait_alu 0xfffd
	v_add_co_ci_u32_e64 v28, null, s11, v28, vcc_lo
	v_cmp_le_i32_e32 vcc_lo, s13, v26
	global_load_b32 v2, v[27:28], off
	s_wait_alu 0xfffe
	s_or_b32 s15, vcc_lo, s15
	s_wait_loadcnt_dscnt 0x0
	v_fmac_f32_e32 v2, v25, v29
	global_store_b32 v[27:28], v2, off
	s_wait_alu 0xfffe
	s_and_not1_b32 exec_lo, exec_lo, s15
	s_cbranch_execnz .LBB9_22
	s_branch .LBB9_5
.LBB9_23:
	s_endpgm
	.section	.rodata,"a",@progbits
	.p2align	6, 0x0
	.amdhsa_kernel _ZN9rocsolver6v33100L23larf_right_kernel_smallILi1024EfiPfEEvT1_S3_T2_lS3_lPKT0_lS4_lS3_l
		.amdhsa_group_segment_fixed_size 8320
		.amdhsa_private_segment_fixed_size 0
		.amdhsa_kernarg_size 88
		.amdhsa_user_sgpr_count 2
		.amdhsa_user_sgpr_dispatch_ptr 0
		.amdhsa_user_sgpr_queue_ptr 0
		.amdhsa_user_sgpr_kernarg_segment_ptr 1
		.amdhsa_user_sgpr_dispatch_id 0
		.amdhsa_user_sgpr_private_segment_size 0
		.amdhsa_wavefront_size32 1
		.amdhsa_uses_dynamic_stack 0
		.amdhsa_enable_private_segment 0
		.amdhsa_system_sgpr_workgroup_id_x 1
		.amdhsa_system_sgpr_workgroup_id_y 1
		.amdhsa_system_sgpr_workgroup_id_z 0
		.amdhsa_system_sgpr_workgroup_info 0
		.amdhsa_system_vgpr_workitem_id 0
		.amdhsa_next_free_vgpr 33
		.amdhsa_next_free_sgpr 26
		.amdhsa_reserve_vcc 1
		.amdhsa_float_round_mode_32 0
		.amdhsa_float_round_mode_16_64 0
		.amdhsa_float_denorm_mode_32 3
		.amdhsa_float_denorm_mode_16_64 3
		.amdhsa_fp16_overflow 0
		.amdhsa_workgroup_processor_mode 1
		.amdhsa_memory_ordered 1
		.amdhsa_forward_progress 1
		.amdhsa_inst_pref_size 14
		.amdhsa_round_robin_scheduling 0
		.amdhsa_exception_fp_ieee_invalid_op 0
		.amdhsa_exception_fp_denorm_src 0
		.amdhsa_exception_fp_ieee_div_zero 0
		.amdhsa_exception_fp_ieee_overflow 0
		.amdhsa_exception_fp_ieee_underflow 0
		.amdhsa_exception_fp_ieee_inexact 0
		.amdhsa_exception_int_div_zero 0
	.end_amdhsa_kernel
	.section	.text._ZN9rocsolver6v33100L23larf_right_kernel_smallILi1024EfiPfEEvT1_S3_T2_lS3_lPKT0_lS4_lS3_l,"axG",@progbits,_ZN9rocsolver6v33100L23larf_right_kernel_smallILi1024EfiPfEEvT1_S3_T2_lS3_lPKT0_lS4_lS3_l,comdat
.Lfunc_end9:
	.size	_ZN9rocsolver6v33100L23larf_right_kernel_smallILi1024EfiPfEEvT1_S3_T2_lS3_lPKT0_lS4_lS3_l, .Lfunc_end9-_ZN9rocsolver6v33100L23larf_right_kernel_smallILi1024EfiPfEEvT1_S3_T2_lS3_lPKT0_lS4_lS3_l
                                        ; -- End function
	.set _ZN9rocsolver6v33100L23larf_right_kernel_smallILi1024EfiPfEEvT1_S3_T2_lS3_lPKT0_lS4_lS3_l.num_vgpr, 33
	.set _ZN9rocsolver6v33100L23larf_right_kernel_smallILi1024EfiPfEEvT1_S3_T2_lS3_lPKT0_lS4_lS3_l.num_agpr, 0
	.set _ZN9rocsolver6v33100L23larf_right_kernel_smallILi1024EfiPfEEvT1_S3_T2_lS3_lPKT0_lS4_lS3_l.numbered_sgpr, 26
	.set _ZN9rocsolver6v33100L23larf_right_kernel_smallILi1024EfiPfEEvT1_S3_T2_lS3_lPKT0_lS4_lS3_l.num_named_barrier, 0
	.set _ZN9rocsolver6v33100L23larf_right_kernel_smallILi1024EfiPfEEvT1_S3_T2_lS3_lPKT0_lS4_lS3_l.private_seg_size, 0
	.set _ZN9rocsolver6v33100L23larf_right_kernel_smallILi1024EfiPfEEvT1_S3_T2_lS3_lPKT0_lS4_lS3_l.uses_vcc, 1
	.set _ZN9rocsolver6v33100L23larf_right_kernel_smallILi1024EfiPfEEvT1_S3_T2_lS3_lPKT0_lS4_lS3_l.uses_flat_scratch, 0
	.set _ZN9rocsolver6v33100L23larf_right_kernel_smallILi1024EfiPfEEvT1_S3_T2_lS3_lPKT0_lS4_lS3_l.has_dyn_sized_stack, 0
	.set _ZN9rocsolver6v33100L23larf_right_kernel_smallILi1024EfiPfEEvT1_S3_T2_lS3_lPKT0_lS4_lS3_l.has_recursion, 0
	.set _ZN9rocsolver6v33100L23larf_right_kernel_smallILi1024EfiPfEEvT1_S3_T2_lS3_lPKT0_lS4_lS3_l.has_indirect_call, 0
	.section	.AMDGPU.csdata,"",@progbits
; Kernel info:
; codeLenInByte = 1676
; TotalNumSgprs: 28
; NumVgprs: 33
; ScratchSize: 0
; MemoryBound: 0
; FloatMode: 240
; IeeeMode: 1
; LDSByteSize: 8320 bytes/workgroup (compile time only)
; SGPRBlocks: 0
; VGPRBlocks: 4
; NumSGPRsForWavesPerEU: 28
; NumVGPRsForWavesPerEU: 33
; Occupancy: 16
; WaveLimiterHint : 0
; COMPUTE_PGM_RSRC2:SCRATCH_EN: 0
; COMPUTE_PGM_RSRC2:USER_SGPR: 2
; COMPUTE_PGM_RSRC2:TRAP_HANDLER: 0
; COMPUTE_PGM_RSRC2:TGID_X_EN: 1
; COMPUTE_PGM_RSRC2:TGID_Y_EN: 1
; COMPUTE_PGM_RSRC2:TGID_Z_EN: 0
; COMPUTE_PGM_RSRC2:TIDIG_COMP_CNT: 0
	.section	.text._ZN9rocsolver6v33100L22larf_left_kernel_smallILi64EfiPKPfEEvT1_S5_T2_lS5_lPKT0_lS6_lS5_l,"axG",@progbits,_ZN9rocsolver6v33100L22larf_left_kernel_smallILi64EfiPKPfEEvT1_S5_T2_lS5_lPKT0_lS6_lS5_l,comdat
	.globl	_ZN9rocsolver6v33100L22larf_left_kernel_smallILi64EfiPKPfEEvT1_S5_T2_lS5_lPKT0_lS6_lS5_l ; -- Begin function _ZN9rocsolver6v33100L22larf_left_kernel_smallILi64EfiPKPfEEvT1_S5_T2_lS5_lPKT0_lS6_lS5_l
	.p2align	8
	.type	_ZN9rocsolver6v33100L22larf_left_kernel_smallILi64EfiPKPfEEvT1_S5_T2_lS5_lPKT0_lS6_lS5_l,@function
_ZN9rocsolver6v33100L22larf_left_kernel_smallILi64EfiPKPfEEvT1_S5_T2_lS5_lPKT0_lS6_lS5_l: ; @_ZN9rocsolver6v33100L22larf_left_kernel_smallILi64EfiPKPfEEvT1_S5_T2_lS5_lPKT0_lS6_lS5_l
; %bb.0:
	s_clause 0x1
	s_load_b256 s[4:11], s[0:1], 0x28
	s_load_b64 s[12:13], s[0:1], 0x0
	s_mov_b32 s14, ttmp9
	s_ashr_i32 s15, ttmp9, 31
	v_lshlrev_b32_e32 v5, 2, v0
	s_lshl_b64 s[16:17], s[14:15], 3
	s_wait_kmcnt 0x0
	s_add_nc_u64 s[2:3], s[8:9], s[16:17]
	s_load_b64 s[8:9], s[2:3], 0x0
	v_cmp_gt_i32_e64 s2, s12, v0
	s_and_saveexec_b32 s3, s2
	s_cbranch_execz .LBB10_3
; %bb.1:
	s_clause 0x1
	s_load_b128 s[20:23], s[0:1], 0x8
	s_load_b32 s19, s[0:1], 0x18
	s_sub_co_i32 s18, 1, s12
	v_dual_mov_b32 v4, v0 :: v_dual_lshlrev_b32 v3, 2, v0
	s_wait_kmcnt 0x0
	s_add_nc_u64 s[16:17], s[20:21], s[16:17]
	s_lshl_b64 s[20:21], s[22:23], 2
	s_load_b64 s[16:17], s[16:17], 0x0
	s_mul_i32 s18, s19, s18
	s_cmp_lt_i32 s19, 1
	s_cselect_b32 s18, s18, 0
	s_delay_alu instid0(SALU_CYCLE_1)
	v_mad_co_u64_u32 v[1:2], null, v0, s19, s[18:19]
	s_mov_b32 s18, 0
	s_lshl_b32 s19, s19, 6
	s_wait_kmcnt 0x0
	s_add_nc_u64 s[16:17], s[16:17], s[20:21]
.LBB10_2:                               ; =>This Inner Loop Header: Depth=1
	v_ashrrev_i32_e32 v2, 31, v1
	v_add_nc_u32_e32 v4, 64, v4
	s_delay_alu instid0(VALU_DEP_2) | instskip(SKIP_2) | instid1(VALU_DEP_2)
	v_lshlrev_b64_e32 v[6:7], 2, v[1:2]
	s_wait_alu 0xfffe
	v_add_nc_u32_e32 v1, s19, v1
	v_add_co_u32 v6, vcc_lo, s16, v6
	s_wait_alu 0xfffd
	s_delay_alu instid0(VALU_DEP_3)
	v_add_co_ci_u32_e64 v7, null, s17, v7, vcc_lo
	v_cmp_le_i32_e32 vcc_lo, s12, v4
	flat_load_b32 v2, v[6:7]
	s_or_b32 s18, vcc_lo, s18
	s_wait_loadcnt_dscnt 0x0
	ds_store_b32 v3, v2
	v_add_nc_u32_e32 v3, 0x100, v3
	s_wait_alu 0xfffe
	s_and_not1_b32 exec_lo, exec_lo, s18
	s_cbranch_execnz .LBB10_2
.LBB10_3:
	s_or_b32 exec_lo, exec_lo, s3
	s_cmp_ge_i32 ttmp7, s13
	s_wait_dscnt 0x0
	s_barrier_signal -1
	s_barrier_wait -1
	global_inv scope:SCOPE_SE
	s_cbranch_scc1 .LBB10_23
; %bb.4:
	s_load_b32 s3, s[0:1], 0x48
	s_mul_u64 s[6:7], s[6:7], s[14:15]
	v_dual_mov_b32 v8, 0 :: v_dual_and_b32 v1, 31, v0
	s_lshl_b64 s[6:7], s[6:7], 2
	s_cmp_gt_i32 s12, 1
	v_mbcnt_lo_u32_b32 v7, -1, 0
	s_cselect_b32 s14, -1, 0
	s_lshl_b64 s[10:11], s[10:11], 2
	v_lshrrev_b32_e32 v6, 3, v0
	s_wait_kmcnt 0x0
	s_add_nc_u64 s[8:9], s[8:9], s[10:11]
	v_cmp_eq_u32_e64 s0, 0, v0
	v_add_co_u32 v10, s8, s8, v5
	v_cmp_eq_u32_e64 s1, 0, v1
	v_lshl_or_b32 v9, v7, 2, 64
	s_wait_alu 0xf1ff
	v_add_co_ci_u32_e64 v11, null, s9, 0, s8
	s_mov_b32 s16, ttmp7
	s_add_nc_u64 s[4:5], s[4:5], s[6:7]
	s_mul_i32 s6, ttmp7, s3
	s_lshl_b32 s8, s3, 6
	s_branch .LBB10_6
.LBB10_5:                               ;   in Loop: Header=BB10_6 Depth=1
	s_or_b32 exec_lo, exec_lo, s7
	s_add_co_i32 s16, s16, 64
	s_add_co_i32 s6, s6, s8
	s_wait_alu 0xfffe
	s_cmp_ge_i32 s16, s13
	s_cbranch_scc1 .LBB10_23
.LBB10_6:                               ; =>This Loop Header: Depth=1
                                        ;     Child Loop BB10_8 Depth 2
                                        ;     Child Loop BB10_22 Depth 2
	s_ashr_i32 s7, s6, 31
	v_mov_b32_e32 v12, 0
	s_lshl_b64 s[10:11], s[6:7], 2
	s_wait_alu 0xfffe
	v_add_co_u32 v1, vcc_lo, v10, s10
	s_wait_alu 0xfffd
	v_add_co_ci_u32_e64 v2, null, s11, v11, vcc_lo
	s_and_saveexec_b32 s7, s2
	s_cbranch_execz .LBB10_10
; %bb.7:                                ;   in Loop: Header=BB10_6 Depth=1
	v_dual_mov_b32 v4, v2 :: v_dual_mov_b32 v13, v5
	v_dual_mov_b32 v12, 0 :: v_dual_mov_b32 v3, v1
	v_mov_b32_e32 v14, v0
	s_mov_b32 s9, 0
.LBB10_8:                               ;   Parent Loop BB10_6 Depth=1
                                        ; =>  This Inner Loop Header: Depth=2
	flat_load_b32 v15, v[3:4]
	ds_load_b32 v16, v13
	v_add_nc_u32_e32 v14, 64, v14
	v_add_co_u32 v3, vcc_lo, 0x100, v3
	v_add_nc_u32_e32 v13, 0x100, v13
	s_wait_alu 0xfffd
	v_add_co_ci_u32_e64 v4, null, 0, v4, vcc_lo
	v_cmp_le_i32_e64 s3, s12, v14
	s_wait_alu 0xfffe
	s_or_b32 s9, s3, s9
	s_wait_loadcnt_dscnt 0x0
	v_fmac_f32_e32 v12, v16, v15
	s_wait_alu 0xfffe
	s_and_not1_b32 exec_lo, exec_lo, s9
	s_cbranch_execnz .LBB10_8
; %bb.9:                                ;   in Loop: Header=BB10_6 Depth=1
	s_or_b32 exec_lo, exec_lo, s9
.LBB10_10:                              ;   in Loop: Header=BB10_6 Depth=1
	s_delay_alu instid0(SALU_CYCLE_1) | instskip(NEXT) | instid1(SALU_CYCLE_1)
	s_or_b32 exec_lo, exec_lo, s7
	s_and_b32 vcc_lo, exec_lo, s14
	s_wait_alu 0xfffe
	s_cbranch_vccz .LBB10_17
; %bb.11:                               ;   in Loop: Header=BB10_6 Depth=1
	v_cmp_ne_u32_e32 vcc_lo, 31, v7
	s_wait_alu 0xfffd
	v_add_co_ci_u32_e64 v3, null, 0, v7, vcc_lo
	v_cmp_gt_u32_e32 vcc_lo, 30, v7
	s_delay_alu instid0(VALU_DEP_2)
	v_lshlrev_b32_e32 v3, 2, v3
	s_wait_alu 0xfffd
	v_cndmask_b32_e64 v4, 0, 2, vcc_lo
	v_cmp_gt_u32_e32 vcc_lo, 28, v7
	ds_bpermute_b32 v3, v3, v12
	v_add_lshl_u32 v4, v4, v7, 2
	s_wait_alu 0xfffd
	v_cndmask_b32_e64 v13, 0, 4, vcc_lo
	v_cmp_gt_u32_e32 vcc_lo, 24, v7
	s_delay_alu instid0(VALU_DEP_2)
	v_add_lshl_u32 v13, v13, v7, 2
	s_wait_dscnt 0x0
	v_add_f32_e32 v3, v12, v3
	ds_bpermute_b32 v4, v4, v3
	s_wait_dscnt 0x0
	v_add_f32_e32 v3, v3, v4
	ds_bpermute_b32 v4, v13, v3
	s_wait_alu 0xfffd
	v_cndmask_b32_e64 v13, 0, 8, vcc_lo
	s_wait_dscnt 0x0
	v_add_f32_e32 v3, v3, v4
	s_delay_alu instid0(VALU_DEP_2)
	v_add_lshl_u32 v4, v13, v7, 2
	ds_bpermute_b32 v4, v4, v3
	s_wait_dscnt 0x0
	v_add_f32_e32 v3, v3, v4
	ds_bpermute_b32 v4, v9, v3
	s_wait_dscnt 0x0
	v_add_f32_e32 v4, v3, v4
	s_and_saveexec_b32 s3, s1
; %bb.12:                               ;   in Loop: Header=BB10_6 Depth=1
	ds_store_b32 v6, v4 offset:8192
; %bb.13:                               ;   in Loop: Header=BB10_6 Depth=1
	s_wait_alu 0xfffe
	s_or_b32 exec_lo, exec_lo, s3
	s_mov_b32 s7, 0
	s_mov_b32 s3, 0
	s_wait_loadcnt_dscnt 0x0
	s_barrier_signal -1
	s_barrier_wait -1
	global_inv scope:SCOPE_SE
                                        ; implicit-def: $vgpr3
	s_and_saveexec_b32 s9, s0
	s_wait_alu 0xfffe
	s_xor_b32 s9, exec_lo, s9
	s_cbranch_execz .LBB10_15
; %bb.14:                               ;   in Loop: Header=BB10_6 Depth=1
	ds_load_b32 v3, v8 offset:8196
	s_mov_b32 s3, exec_lo
	s_wait_dscnt 0x0
	v_add_f32_e32 v3, v4, v3
.LBB10_15:                              ;   in Loop: Header=BB10_6 Depth=1
	s_wait_alu 0xfffe
	s_or_b32 exec_lo, exec_lo, s9
	s_delay_alu instid0(SALU_CYCLE_1)
	s_and_b32 vcc_lo, exec_lo, s7
	s_wait_alu 0xfffe
	s_cbranch_vccnz .LBB10_18
.LBB10_16:                              ;   in Loop: Header=BB10_6 Depth=1
	v_mov_b32_e32 v12, v3
	s_wait_alu 0xfffe
	s_and_saveexec_b32 s7, s3
	s_cbranch_execnz .LBB10_19
	s_branch .LBB10_20
.LBB10_17:                              ;   in Loop: Header=BB10_6 Depth=1
	s_mov_b32 s3, 0
                                        ; implicit-def: $vgpr3
	s_cbranch_execz .LBB10_16
.LBB10_18:                              ;   in Loop: Header=BB10_6 Depth=1
	s_wait_alu 0xfffe
	s_and_not1_b32 s3, s3, exec_lo
	s_and_b32 s7, s0, exec_lo
	s_wait_alu 0xfffe
	s_or_b32 s3, s3, s7
	s_wait_alu 0xfffe
	s_and_saveexec_b32 s7, s3
.LBB10_19:                              ;   in Loop: Header=BB10_6 Depth=1
	ds_store_b32 v8, v12 offset:8192
.LBB10_20:                              ;   in Loop: Header=BB10_6 Depth=1
	s_or_b32 exec_lo, exec_lo, s7
	s_wait_loadcnt_dscnt 0x0
	s_barrier_signal -1
	s_barrier_wait -1
	global_inv scope:SCOPE_SE
	s_and_saveexec_b32 s7, s2
	s_cbranch_execz .LBB10_5
; %bb.21:                               ;   in Loop: Header=BB10_6 Depth=1
	global_load_b32 v3, v8, s[4:5]
	ds_load_b32 v4, v8 offset:8192
	s_mov_b32 s9, 0
	s_wait_loadcnt 0x0
	v_xor_b32_e32 v12, 0x80000000, v3
	s_wait_dscnt 0x0
	s_delay_alu instid0(VALU_DEP_1)
	v_dual_mov_b32 v3, v5 :: v_dual_mul_f32 v4, v4, v12
	v_mov_b32_e32 v12, v0
.LBB10_22:                              ;   Parent Loop BB10_6 Depth=1
                                        ; =>  This Inner Loop Header: Depth=2
	flat_load_b32 v13, v[1:2]
	ds_load_b32 v14, v3
	v_add_nc_u32_e32 v12, 64, v12
	v_add_nc_u32_e32 v3, 0x100, v3
	s_wait_loadcnt_dscnt 0x0
	v_fmac_f32_e32 v13, v4, v14
	s_delay_alu instid0(VALU_DEP_3)
	v_cmp_le_i32_e32 vcc_lo, s12, v12
	flat_store_b32 v[1:2], v13
	v_add_co_u32 v1, s3, 0x100, v1
	s_wait_alu 0xf1ff
	v_add_co_ci_u32_e64 v2, null, 0, v2, s3
	s_wait_alu 0xfffe
	s_or_b32 s9, vcc_lo, s9
	s_wait_alu 0xfffe
	s_and_not1_b32 exec_lo, exec_lo, s9
	s_cbranch_execnz .LBB10_22
	s_branch .LBB10_5
.LBB10_23:
	s_endpgm
	.section	.rodata,"a",@progbits
	.p2align	6, 0x0
	.amdhsa_kernel _ZN9rocsolver6v33100L22larf_left_kernel_smallILi64EfiPKPfEEvT1_S5_T2_lS5_lPKT0_lS6_lS5_l
		.amdhsa_group_segment_fixed_size 8448
		.amdhsa_private_segment_fixed_size 0
		.amdhsa_kernarg_size 88
		.amdhsa_user_sgpr_count 2
		.amdhsa_user_sgpr_dispatch_ptr 0
		.amdhsa_user_sgpr_queue_ptr 0
		.amdhsa_user_sgpr_kernarg_segment_ptr 1
		.amdhsa_user_sgpr_dispatch_id 0
		.amdhsa_user_sgpr_private_segment_size 0
		.amdhsa_wavefront_size32 1
		.amdhsa_uses_dynamic_stack 0
		.amdhsa_enable_private_segment 0
		.amdhsa_system_sgpr_workgroup_id_x 1
		.amdhsa_system_sgpr_workgroup_id_y 1
		.amdhsa_system_sgpr_workgroup_id_z 0
		.amdhsa_system_sgpr_workgroup_info 0
		.amdhsa_system_vgpr_workitem_id 0
		.amdhsa_next_free_vgpr 169
		.amdhsa_next_free_sgpr 24
		.amdhsa_reserve_vcc 1
		.amdhsa_float_round_mode_32 0
		.amdhsa_float_round_mode_16_64 0
		.amdhsa_float_denorm_mode_32 3
		.amdhsa_float_denorm_mode_16_64 3
		.amdhsa_fp16_overflow 0
		.amdhsa_workgroup_processor_mode 1
		.amdhsa_memory_ordered 1
		.amdhsa_forward_progress 1
		.amdhsa_inst_pref_size 10
		.amdhsa_round_robin_scheduling 0
		.amdhsa_exception_fp_ieee_invalid_op 0
		.amdhsa_exception_fp_denorm_src 0
		.amdhsa_exception_fp_ieee_div_zero 0
		.amdhsa_exception_fp_ieee_overflow 0
		.amdhsa_exception_fp_ieee_underflow 0
		.amdhsa_exception_fp_ieee_inexact 0
		.amdhsa_exception_int_div_zero 0
	.end_amdhsa_kernel
	.section	.text._ZN9rocsolver6v33100L22larf_left_kernel_smallILi64EfiPKPfEEvT1_S5_T2_lS5_lPKT0_lS6_lS5_l,"axG",@progbits,_ZN9rocsolver6v33100L22larf_left_kernel_smallILi64EfiPKPfEEvT1_S5_T2_lS5_lPKT0_lS6_lS5_l,comdat
.Lfunc_end10:
	.size	_ZN9rocsolver6v33100L22larf_left_kernel_smallILi64EfiPKPfEEvT1_S5_T2_lS5_lPKT0_lS6_lS5_l, .Lfunc_end10-_ZN9rocsolver6v33100L22larf_left_kernel_smallILi64EfiPKPfEEvT1_S5_T2_lS5_lPKT0_lS6_lS5_l
                                        ; -- End function
	.set _ZN9rocsolver6v33100L22larf_left_kernel_smallILi64EfiPKPfEEvT1_S5_T2_lS5_lPKT0_lS6_lS5_l.num_vgpr, 17
	.set _ZN9rocsolver6v33100L22larf_left_kernel_smallILi64EfiPKPfEEvT1_S5_T2_lS5_lPKT0_lS6_lS5_l.num_agpr, 0
	.set _ZN9rocsolver6v33100L22larf_left_kernel_smallILi64EfiPKPfEEvT1_S5_T2_lS5_lPKT0_lS6_lS5_l.numbered_sgpr, 24
	.set _ZN9rocsolver6v33100L22larf_left_kernel_smallILi64EfiPKPfEEvT1_S5_T2_lS5_lPKT0_lS6_lS5_l.num_named_barrier, 0
	.set _ZN9rocsolver6v33100L22larf_left_kernel_smallILi64EfiPKPfEEvT1_S5_T2_lS5_lPKT0_lS6_lS5_l.private_seg_size, 0
	.set _ZN9rocsolver6v33100L22larf_left_kernel_smallILi64EfiPKPfEEvT1_S5_T2_lS5_lPKT0_lS6_lS5_l.uses_vcc, 1
	.set _ZN9rocsolver6v33100L22larf_left_kernel_smallILi64EfiPKPfEEvT1_S5_T2_lS5_lPKT0_lS6_lS5_l.uses_flat_scratch, 0
	.set _ZN9rocsolver6v33100L22larf_left_kernel_smallILi64EfiPKPfEEvT1_S5_T2_lS5_lPKT0_lS6_lS5_l.has_dyn_sized_stack, 0
	.set _ZN9rocsolver6v33100L22larf_left_kernel_smallILi64EfiPKPfEEvT1_S5_T2_lS5_lPKT0_lS6_lS5_l.has_recursion, 0
	.set _ZN9rocsolver6v33100L22larf_left_kernel_smallILi64EfiPKPfEEvT1_S5_T2_lS5_lPKT0_lS6_lS5_l.has_indirect_call, 0
	.section	.AMDGPU.csdata,"",@progbits
; Kernel info:
; codeLenInByte = 1188
; TotalNumSgprs: 26
; NumVgprs: 17
; ScratchSize: 0
; MemoryBound: 0
; FloatMode: 240
; IeeeMode: 1
; LDSByteSize: 8448 bytes/workgroup (compile time only)
; SGPRBlocks: 0
; VGPRBlocks: 21
; NumSGPRsForWavesPerEU: 26
; NumVGPRsForWavesPerEU: 169
; Occupancy: 8
; WaveLimiterHint : 1
; COMPUTE_PGM_RSRC2:SCRATCH_EN: 0
; COMPUTE_PGM_RSRC2:USER_SGPR: 2
; COMPUTE_PGM_RSRC2:TRAP_HANDLER: 0
; COMPUTE_PGM_RSRC2:TGID_X_EN: 1
; COMPUTE_PGM_RSRC2:TGID_Y_EN: 1
; COMPUTE_PGM_RSRC2:TGID_Z_EN: 0
; COMPUTE_PGM_RSRC2:TIDIG_COMP_CNT: 0
	.section	.text._ZN9rocsolver6v33100L22larf_left_kernel_smallILi128EfiPKPfEEvT1_S5_T2_lS5_lPKT0_lS6_lS5_l,"axG",@progbits,_ZN9rocsolver6v33100L22larf_left_kernel_smallILi128EfiPKPfEEvT1_S5_T2_lS5_lPKT0_lS6_lS5_l,comdat
	.globl	_ZN9rocsolver6v33100L22larf_left_kernel_smallILi128EfiPKPfEEvT1_S5_T2_lS5_lPKT0_lS6_lS5_l ; -- Begin function _ZN9rocsolver6v33100L22larf_left_kernel_smallILi128EfiPKPfEEvT1_S5_T2_lS5_lPKT0_lS6_lS5_l
	.p2align	8
	.type	_ZN9rocsolver6v33100L22larf_left_kernel_smallILi128EfiPKPfEEvT1_S5_T2_lS5_lPKT0_lS6_lS5_l,@function
_ZN9rocsolver6v33100L22larf_left_kernel_smallILi128EfiPKPfEEvT1_S5_T2_lS5_lPKT0_lS6_lS5_l: ; @_ZN9rocsolver6v33100L22larf_left_kernel_smallILi128EfiPKPfEEvT1_S5_T2_lS5_lPKT0_lS6_lS5_l
; %bb.0:
	s_clause 0x1
	s_load_b256 s[4:11], s[0:1], 0x28
	s_load_b64 s[12:13], s[0:1], 0x0
	s_mov_b32 s14, ttmp9
	s_ashr_i32 s15, ttmp9, 31
	v_lshlrev_b32_e32 v5, 2, v0
	s_lshl_b64 s[16:17], s[14:15], 3
	s_wait_kmcnt 0x0
	s_add_nc_u64 s[2:3], s[8:9], s[16:17]
	s_load_b64 s[8:9], s[2:3], 0x0
	v_cmp_gt_i32_e64 s2, s12, v0
	s_and_saveexec_b32 s3, s2
	s_cbranch_execz .LBB11_3
; %bb.1:
	s_clause 0x1
	s_load_b128 s[20:23], s[0:1], 0x8
	s_load_b32 s19, s[0:1], 0x18
	s_sub_co_i32 s18, 1, s12
	v_dual_mov_b32 v4, v0 :: v_dual_lshlrev_b32 v3, 2, v0
	s_wait_kmcnt 0x0
	s_add_nc_u64 s[16:17], s[20:21], s[16:17]
	s_lshl_b64 s[20:21], s[22:23], 2
	s_load_b64 s[16:17], s[16:17], 0x0
	s_mul_i32 s18, s19, s18
	s_cmp_lt_i32 s19, 1
	s_cselect_b32 s18, s18, 0
	s_delay_alu instid0(SALU_CYCLE_1)
	v_mad_co_u64_u32 v[1:2], null, v0, s19, s[18:19]
	s_mov_b32 s18, 0
	s_lshl_b32 s19, s19, 7
	s_wait_kmcnt 0x0
	s_add_nc_u64 s[16:17], s[16:17], s[20:21]
.LBB11_2:                               ; =>This Inner Loop Header: Depth=1
	v_ashrrev_i32_e32 v2, 31, v1
	v_add_nc_u32_e32 v4, 0x80, v4
	s_delay_alu instid0(VALU_DEP_2) | instskip(SKIP_2) | instid1(VALU_DEP_2)
	v_lshlrev_b64_e32 v[6:7], 2, v[1:2]
	s_wait_alu 0xfffe
	v_add_nc_u32_e32 v1, s19, v1
	v_add_co_u32 v6, vcc_lo, s16, v6
	s_wait_alu 0xfffd
	s_delay_alu instid0(VALU_DEP_3)
	v_add_co_ci_u32_e64 v7, null, s17, v7, vcc_lo
	v_cmp_le_i32_e32 vcc_lo, s12, v4
	flat_load_b32 v2, v[6:7]
	s_or_b32 s18, vcc_lo, s18
	s_wait_loadcnt_dscnt 0x0
	ds_store_b32 v3, v2
	v_add_nc_u32_e32 v3, 0x200, v3
	s_wait_alu 0xfffe
	s_and_not1_b32 exec_lo, exec_lo, s18
	s_cbranch_execnz .LBB11_2
.LBB11_3:
	s_or_b32 exec_lo, exec_lo, s3
	s_cmp_ge_i32 ttmp7, s13
	s_wait_dscnt 0x0
	s_barrier_signal -1
	s_barrier_wait -1
	global_inv scope:SCOPE_SE
	s_cbranch_scc1 .LBB11_23
; %bb.4:
	s_load_b32 s3, s[0:1], 0x48
	s_mul_u64 s[0:1], s[6:7], s[14:15]
	v_dual_mov_b32 v12, 0x2004 :: v_dual_and_b32 v1, 31, v0
	s_lshl_b64 s[6:7], s[0:1], 2
	s_cmp_gt_i32 s12, 1
	v_mbcnt_lo_u32_b32 v8, -1, 0
	s_cselect_b32 s14, -1, 0
	s_lshl_b64 s[10:11], s[10:11], 2
	v_cmp_eq_u32_e64 s0, 0, v1
	s_wait_kmcnt 0x0
	s_add_nc_u64 s[8:9], s[8:9], s[10:11]
	v_lshrrev_b32_e32 v6, 3, v0
	v_add_co_u32 v9, s8, s8, v5
	v_cmp_eq_u32_e64 s1, 0, v0
	v_mov_b32_e32 v7, 0
	s_wait_alu 0xf1ff
	v_add_co_ci_u32_e64 v10, null, s9, 0, s8
	v_lshl_or_b32 v11, v8, 2, 64
	s_mov_b32 s16, ttmp7
	s_add_nc_u64 s[4:5], s[4:5], s[6:7]
	s_mul_i32 s6, ttmp7, s3
	s_lshl_b32 s8, s3, 6
	s_branch .LBB11_6
.LBB11_5:                               ;   in Loop: Header=BB11_6 Depth=1
	s_or_b32 exec_lo, exec_lo, s7
	s_add_co_i32 s16, s16, 64
	s_add_co_i32 s6, s6, s8
	s_wait_alu 0xfffe
	s_cmp_ge_i32 s16, s13
	s_cbranch_scc1 .LBB11_23
.LBB11_6:                               ; =>This Loop Header: Depth=1
                                        ;     Child Loop BB11_8 Depth 2
                                        ;     Child Loop BB11_22 Depth 2
	s_ashr_i32 s7, s6, 31
	v_mov_b32_e32 v13, 0
	s_lshl_b64 s[10:11], s[6:7], 2
	s_wait_alu 0xfffe
	v_add_co_u32 v1, vcc_lo, v9, s10
	s_wait_alu 0xfffd
	v_add_co_ci_u32_e64 v2, null, s11, v10, vcc_lo
	s_and_saveexec_b32 s7, s2
	s_cbranch_execz .LBB11_10
; %bb.7:                                ;   in Loop: Header=BB11_6 Depth=1
	v_dual_mov_b32 v13, 0 :: v_dual_mov_b32 v4, v2
	v_dual_mov_b32 v3, v1 :: v_dual_mov_b32 v14, v5
	v_mov_b32_e32 v15, v0
	s_mov_b32 s9, 0
.LBB11_8:                               ;   Parent Loop BB11_6 Depth=1
                                        ; =>  This Inner Loop Header: Depth=2
	flat_load_b32 v16, v[3:4]
	ds_load_b32 v17, v14
	v_add_nc_u32_e32 v15, 0x80, v15
	v_add_co_u32 v3, vcc_lo, 0x200, v3
	v_add_nc_u32_e32 v14, 0x200, v14
	s_wait_alu 0xfffd
	v_add_co_ci_u32_e64 v4, null, 0, v4, vcc_lo
	v_cmp_le_i32_e64 s3, s12, v15
	s_wait_alu 0xfffe
	s_or_b32 s9, s3, s9
	s_wait_loadcnt_dscnt 0x0
	v_fmac_f32_e32 v13, v17, v16
	s_wait_alu 0xfffe
	s_and_not1_b32 exec_lo, exec_lo, s9
	s_cbranch_execnz .LBB11_8
; %bb.9:                                ;   in Loop: Header=BB11_6 Depth=1
	s_or_b32 exec_lo, exec_lo, s9
.LBB11_10:                              ;   in Loop: Header=BB11_6 Depth=1
	s_delay_alu instid0(SALU_CYCLE_1) | instskip(NEXT) | instid1(SALU_CYCLE_1)
	s_or_b32 exec_lo, exec_lo, s7
	s_and_b32 vcc_lo, exec_lo, s14
	s_wait_alu 0xfffe
	s_cbranch_vccz .LBB11_17
; %bb.11:                               ;   in Loop: Header=BB11_6 Depth=1
	v_cmp_ne_u32_e32 vcc_lo, 31, v8
	s_wait_alu 0xfffd
	v_add_co_ci_u32_e64 v3, null, 0, v8, vcc_lo
	v_cmp_gt_u32_e32 vcc_lo, 30, v8
	s_delay_alu instid0(VALU_DEP_2)
	v_lshlrev_b32_e32 v3, 2, v3
	s_wait_alu 0xfffd
	v_cndmask_b32_e64 v4, 0, 2, vcc_lo
	v_cmp_gt_u32_e32 vcc_lo, 28, v8
	ds_bpermute_b32 v3, v3, v13
	v_add_lshl_u32 v4, v4, v8, 2
	s_wait_alu 0xfffd
	v_cndmask_b32_e64 v14, 0, 4, vcc_lo
	v_cmp_gt_u32_e32 vcc_lo, 24, v8
	s_delay_alu instid0(VALU_DEP_2)
	v_add_lshl_u32 v14, v14, v8, 2
	s_wait_dscnt 0x0
	v_add_f32_e32 v3, v13, v3
	ds_bpermute_b32 v4, v4, v3
	s_wait_dscnt 0x0
	v_add_f32_e32 v3, v3, v4
	ds_bpermute_b32 v4, v14, v3
	s_wait_alu 0xfffd
	v_cndmask_b32_e64 v14, 0, 8, vcc_lo
	s_wait_dscnt 0x0
	v_add_f32_e32 v3, v3, v4
	s_delay_alu instid0(VALU_DEP_2)
	v_add_lshl_u32 v4, v14, v8, 2
	ds_bpermute_b32 v4, v4, v3
	s_wait_dscnt 0x0
	v_add_f32_e32 v3, v3, v4
	ds_bpermute_b32 v4, v11, v3
	s_wait_dscnt 0x0
	v_add_f32_e32 v4, v3, v4
	s_and_saveexec_b32 s3, s0
; %bb.12:                               ;   in Loop: Header=BB11_6 Depth=1
	ds_store_b32 v6, v4 offset:8192
; %bb.13:                               ;   in Loop: Header=BB11_6 Depth=1
	s_wait_alu 0xfffe
	s_or_b32 exec_lo, exec_lo, s3
	s_mov_b32 s7, 0
	s_mov_b32 s3, 0
	s_wait_loadcnt_dscnt 0x0
	s_barrier_signal -1
	s_barrier_wait -1
	global_inv scope:SCOPE_SE
                                        ; implicit-def: $vgpr3
	s_and_saveexec_b32 s9, s1
	s_wait_alu 0xfffe
	s_xor_b32 s9, exec_lo, s9
	s_cbranch_execz .LBB11_15
; %bb.14:                               ;   in Loop: Header=BB11_6 Depth=1
	ds_load_2addr_b32 v[14:15], v12 offset1:1
	ds_load_b32 v3, v7 offset:8204
	s_mov_b32 s3, exec_lo
	s_wait_dscnt 0x1
	v_add_f32_e32 v4, v4, v14
	s_delay_alu instid0(VALU_DEP_1) | instskip(SKIP_1) | instid1(VALU_DEP_1)
	v_add_f32_e32 v4, v4, v15
	s_wait_dscnt 0x0
	v_add_f32_e32 v3, v4, v3
.LBB11_15:                              ;   in Loop: Header=BB11_6 Depth=1
	s_wait_alu 0xfffe
	s_or_b32 exec_lo, exec_lo, s9
	s_delay_alu instid0(SALU_CYCLE_1)
	s_and_b32 vcc_lo, exec_lo, s7
	s_wait_alu 0xfffe
	s_cbranch_vccnz .LBB11_18
.LBB11_16:                              ;   in Loop: Header=BB11_6 Depth=1
	v_mov_b32_e32 v13, v3
	s_wait_alu 0xfffe
	s_and_saveexec_b32 s7, s3
	s_cbranch_execnz .LBB11_19
	s_branch .LBB11_20
.LBB11_17:                              ;   in Loop: Header=BB11_6 Depth=1
	s_mov_b32 s3, 0
                                        ; implicit-def: $vgpr3
	s_cbranch_execz .LBB11_16
.LBB11_18:                              ;   in Loop: Header=BB11_6 Depth=1
	s_wait_alu 0xfffe
	s_and_not1_b32 s3, s3, exec_lo
	s_and_b32 s7, s1, exec_lo
	s_wait_alu 0xfffe
	s_or_b32 s3, s3, s7
	s_wait_alu 0xfffe
	s_and_saveexec_b32 s7, s3
.LBB11_19:                              ;   in Loop: Header=BB11_6 Depth=1
	ds_store_b32 v7, v13 offset:8192
.LBB11_20:                              ;   in Loop: Header=BB11_6 Depth=1
	s_or_b32 exec_lo, exec_lo, s7
	s_wait_loadcnt_dscnt 0x0
	s_barrier_signal -1
	s_barrier_wait -1
	global_inv scope:SCOPE_SE
	s_and_saveexec_b32 s7, s2
	s_cbranch_execz .LBB11_5
; %bb.21:                               ;   in Loop: Header=BB11_6 Depth=1
	global_load_b32 v3, v7, s[4:5]
	ds_load_b32 v4, v7 offset:8192
	s_mov_b32 s9, 0
	s_wait_loadcnt 0x0
	v_xor_b32_e32 v13, 0x80000000, v3
	s_wait_dscnt 0x0
	s_delay_alu instid0(VALU_DEP_1)
	v_dual_mov_b32 v3, v5 :: v_dual_mul_f32 v4, v4, v13
	v_mov_b32_e32 v13, v0
.LBB11_22:                              ;   Parent Loop BB11_6 Depth=1
                                        ; =>  This Inner Loop Header: Depth=2
	flat_load_b32 v14, v[1:2]
	ds_load_b32 v15, v3
	v_add_nc_u32_e32 v13, 0x80, v13
	v_add_nc_u32_e32 v3, 0x200, v3
	s_wait_loadcnt_dscnt 0x0
	v_fmac_f32_e32 v14, v4, v15
	s_delay_alu instid0(VALU_DEP_3)
	v_cmp_le_i32_e32 vcc_lo, s12, v13
	flat_store_b32 v[1:2], v14
	v_add_co_u32 v1, s3, 0x200, v1
	s_wait_alu 0xf1ff
	v_add_co_ci_u32_e64 v2, null, 0, v2, s3
	s_wait_alu 0xfffe
	s_or_b32 s9, vcc_lo, s9
	s_wait_alu 0xfffe
	s_and_not1_b32 exec_lo, exec_lo, s9
	s_cbranch_execnz .LBB11_22
	s_branch .LBB11_5
.LBB11_23:
	s_endpgm
	.section	.rodata,"a",@progbits
	.p2align	6, 0x0
	.amdhsa_kernel _ZN9rocsolver6v33100L22larf_left_kernel_smallILi128EfiPKPfEEvT1_S5_T2_lS5_lPKT0_lS6_lS5_l
		.amdhsa_group_segment_fixed_size 8704
		.amdhsa_private_segment_fixed_size 0
		.amdhsa_kernarg_size 88
		.amdhsa_user_sgpr_count 2
		.amdhsa_user_sgpr_dispatch_ptr 0
		.amdhsa_user_sgpr_queue_ptr 0
		.amdhsa_user_sgpr_kernarg_segment_ptr 1
		.amdhsa_user_sgpr_dispatch_id 0
		.amdhsa_user_sgpr_private_segment_size 0
		.amdhsa_wavefront_size32 1
		.amdhsa_uses_dynamic_stack 0
		.amdhsa_enable_private_segment 0
		.amdhsa_system_sgpr_workgroup_id_x 1
		.amdhsa_system_sgpr_workgroup_id_y 1
		.amdhsa_system_sgpr_workgroup_id_z 0
		.amdhsa_system_sgpr_workgroup_info 0
		.amdhsa_system_vgpr_workitem_id 0
		.amdhsa_next_free_vgpr 18
		.amdhsa_next_free_sgpr 24
		.amdhsa_reserve_vcc 1
		.amdhsa_float_round_mode_32 0
		.amdhsa_float_round_mode_16_64 0
		.amdhsa_float_denorm_mode_32 3
		.amdhsa_float_denorm_mode_16_64 3
		.amdhsa_fp16_overflow 0
		.amdhsa_workgroup_processor_mode 1
		.amdhsa_memory_ordered 1
		.amdhsa_forward_progress 1
		.amdhsa_inst_pref_size 10
		.amdhsa_round_robin_scheduling 0
		.amdhsa_exception_fp_ieee_invalid_op 0
		.amdhsa_exception_fp_denorm_src 0
		.amdhsa_exception_fp_ieee_div_zero 0
		.amdhsa_exception_fp_ieee_overflow 0
		.amdhsa_exception_fp_ieee_underflow 0
		.amdhsa_exception_fp_ieee_inexact 0
		.amdhsa_exception_int_div_zero 0
	.end_amdhsa_kernel
	.section	.text._ZN9rocsolver6v33100L22larf_left_kernel_smallILi128EfiPKPfEEvT1_S5_T2_lS5_lPKT0_lS6_lS5_l,"axG",@progbits,_ZN9rocsolver6v33100L22larf_left_kernel_smallILi128EfiPKPfEEvT1_S5_T2_lS5_lPKT0_lS6_lS5_l,comdat
.Lfunc_end11:
	.size	_ZN9rocsolver6v33100L22larf_left_kernel_smallILi128EfiPKPfEEvT1_S5_T2_lS5_lPKT0_lS6_lS5_l, .Lfunc_end11-_ZN9rocsolver6v33100L22larf_left_kernel_smallILi128EfiPKPfEEvT1_S5_T2_lS5_lPKT0_lS6_lS5_l
                                        ; -- End function
	.set _ZN9rocsolver6v33100L22larf_left_kernel_smallILi128EfiPKPfEEvT1_S5_T2_lS5_lPKT0_lS6_lS5_l.num_vgpr, 18
	.set _ZN9rocsolver6v33100L22larf_left_kernel_smallILi128EfiPKPfEEvT1_S5_T2_lS5_lPKT0_lS6_lS5_l.num_agpr, 0
	.set _ZN9rocsolver6v33100L22larf_left_kernel_smallILi128EfiPKPfEEvT1_S5_T2_lS5_lPKT0_lS6_lS5_l.numbered_sgpr, 24
	.set _ZN9rocsolver6v33100L22larf_left_kernel_smallILi128EfiPKPfEEvT1_S5_T2_lS5_lPKT0_lS6_lS5_l.num_named_barrier, 0
	.set _ZN9rocsolver6v33100L22larf_left_kernel_smallILi128EfiPKPfEEvT1_S5_T2_lS5_lPKT0_lS6_lS5_l.private_seg_size, 0
	.set _ZN9rocsolver6v33100L22larf_left_kernel_smallILi128EfiPKPfEEvT1_S5_T2_lS5_lPKT0_lS6_lS5_l.uses_vcc, 1
	.set _ZN9rocsolver6v33100L22larf_left_kernel_smallILi128EfiPKPfEEvT1_S5_T2_lS5_lPKT0_lS6_lS5_l.uses_flat_scratch, 0
	.set _ZN9rocsolver6v33100L22larf_left_kernel_smallILi128EfiPKPfEEvT1_S5_T2_lS5_lPKT0_lS6_lS5_l.has_dyn_sized_stack, 0
	.set _ZN9rocsolver6v33100L22larf_left_kernel_smallILi128EfiPKPfEEvT1_S5_T2_lS5_lPKT0_lS6_lS5_l.has_recursion, 0
	.set _ZN9rocsolver6v33100L22larf_left_kernel_smallILi128EfiPKPfEEvT1_S5_T2_lS5_lPKT0_lS6_lS5_l.has_indirect_call, 0
	.section	.AMDGPU.csdata,"",@progbits
; Kernel info:
; codeLenInByte = 1232
; TotalNumSgprs: 26
; NumVgprs: 18
; ScratchSize: 0
; MemoryBound: 0
; FloatMode: 240
; IeeeMode: 1
; LDSByteSize: 8704 bytes/workgroup (compile time only)
; SGPRBlocks: 0
; VGPRBlocks: 2
; NumSGPRsForWavesPerEU: 26
; NumVGPRsForWavesPerEU: 18
; Occupancy: 15
; WaveLimiterHint : 1
; COMPUTE_PGM_RSRC2:SCRATCH_EN: 0
; COMPUTE_PGM_RSRC2:USER_SGPR: 2
; COMPUTE_PGM_RSRC2:TRAP_HANDLER: 0
; COMPUTE_PGM_RSRC2:TGID_X_EN: 1
; COMPUTE_PGM_RSRC2:TGID_Y_EN: 1
; COMPUTE_PGM_RSRC2:TGID_Z_EN: 0
; COMPUTE_PGM_RSRC2:TIDIG_COMP_CNT: 0
	.section	.text._ZN9rocsolver6v33100L22larf_left_kernel_smallILi256EfiPKPfEEvT1_S5_T2_lS5_lPKT0_lS6_lS5_l,"axG",@progbits,_ZN9rocsolver6v33100L22larf_left_kernel_smallILi256EfiPKPfEEvT1_S5_T2_lS5_lPKT0_lS6_lS5_l,comdat
	.globl	_ZN9rocsolver6v33100L22larf_left_kernel_smallILi256EfiPKPfEEvT1_S5_T2_lS5_lPKT0_lS6_lS5_l ; -- Begin function _ZN9rocsolver6v33100L22larf_left_kernel_smallILi256EfiPKPfEEvT1_S5_T2_lS5_lPKT0_lS6_lS5_l
	.p2align	8
	.type	_ZN9rocsolver6v33100L22larf_left_kernel_smallILi256EfiPKPfEEvT1_S5_T2_lS5_lPKT0_lS6_lS5_l,@function
_ZN9rocsolver6v33100L22larf_left_kernel_smallILi256EfiPKPfEEvT1_S5_T2_lS5_lPKT0_lS6_lS5_l: ; @_ZN9rocsolver6v33100L22larf_left_kernel_smallILi256EfiPKPfEEvT1_S5_T2_lS5_lPKT0_lS6_lS5_l
; %bb.0:
	s_clause 0x1
	s_load_b256 s[4:11], s[0:1], 0x28
	s_load_b64 s[12:13], s[0:1], 0x0
	s_mov_b32 s14, ttmp9
	s_ashr_i32 s15, ttmp9, 31
	v_lshlrev_b32_e32 v5, 2, v0
	s_lshl_b64 s[16:17], s[14:15], 3
	s_wait_kmcnt 0x0
	s_add_nc_u64 s[2:3], s[8:9], s[16:17]
	s_load_b64 s[8:9], s[2:3], 0x0
	v_cmp_gt_i32_e64 s2, s12, v0
	s_and_saveexec_b32 s3, s2
	s_cbranch_execz .LBB12_3
; %bb.1:
	s_clause 0x1
	s_load_b128 s[20:23], s[0:1], 0x8
	s_load_b32 s19, s[0:1], 0x18
	s_sub_co_i32 s18, 1, s12
	v_dual_mov_b32 v4, v0 :: v_dual_lshlrev_b32 v3, 2, v0
	s_wait_kmcnt 0x0
	s_add_nc_u64 s[16:17], s[20:21], s[16:17]
	s_lshl_b64 s[20:21], s[22:23], 2
	s_load_b64 s[16:17], s[16:17], 0x0
	s_mul_i32 s18, s19, s18
	s_cmp_lt_i32 s19, 1
	s_cselect_b32 s18, s18, 0
	s_delay_alu instid0(SALU_CYCLE_1)
	v_mad_co_u64_u32 v[1:2], null, v0, s19, s[18:19]
	s_mov_b32 s18, 0
	s_lshl_b32 s19, s19, 8
	s_wait_kmcnt 0x0
	s_add_nc_u64 s[16:17], s[16:17], s[20:21]
.LBB12_2:                               ; =>This Inner Loop Header: Depth=1
	v_ashrrev_i32_e32 v2, 31, v1
	v_add_nc_u32_e32 v4, 0x100, v4
	s_delay_alu instid0(VALU_DEP_2) | instskip(SKIP_2) | instid1(VALU_DEP_2)
	v_lshlrev_b64_e32 v[6:7], 2, v[1:2]
	s_wait_alu 0xfffe
	v_add_nc_u32_e32 v1, s19, v1
	v_add_co_u32 v6, vcc_lo, s16, v6
	s_wait_alu 0xfffd
	s_delay_alu instid0(VALU_DEP_3)
	v_add_co_ci_u32_e64 v7, null, s17, v7, vcc_lo
	v_cmp_le_i32_e32 vcc_lo, s12, v4
	flat_load_b32 v2, v[6:7]
	s_or_b32 s18, vcc_lo, s18
	s_wait_loadcnt_dscnt 0x0
	ds_store_b32 v3, v2
	v_add_nc_u32_e32 v3, 0x400, v3
	s_wait_alu 0xfffe
	s_and_not1_b32 exec_lo, exec_lo, s18
	s_cbranch_execnz .LBB12_2
.LBB12_3:
	s_or_b32 exec_lo, exec_lo, s3
	s_cmp_ge_i32 ttmp7, s13
	s_wait_dscnt 0x0
	s_barrier_signal -1
	s_barrier_wait -1
	global_inv scope:SCOPE_SE
	s_cbranch_scc1 .LBB12_23
; %bb.4:
	s_load_b32 s3, s[0:1], 0x48
	s_mul_u64 s[0:1], s[6:7], s[14:15]
	v_dual_mov_b32 v12, 0x2004 :: v_dual_and_b32 v1, 31, v0
	s_lshl_b64 s[6:7], s[0:1], 2
	s_cmp_gt_i32 s12, 1
	v_mbcnt_lo_u32_b32 v8, -1, 0
	s_cselect_b32 s14, -1, 0
	s_lshl_b64 s[10:11], s[10:11], 2
	v_cmp_eq_u32_e64 s0, 0, v1
	s_wait_kmcnt 0x0
	s_add_nc_u64 s[8:9], s[8:9], s[10:11]
	v_lshrrev_b32_e32 v6, 3, v0
	v_add_co_u32 v9, s8, s8, v5
	v_cmp_eq_u32_e64 s1, 0, v0
	v_dual_mov_b32 v7, 0 :: v_dual_mov_b32 v14, 0x2014
	s_wait_alu 0xf1ff
	v_add_co_ci_u32_e64 v10, null, s9, 0, s8
	v_lshl_or_b32 v11, v8, 2, 64
	v_mov_b32_e32 v13, 0x200c
	s_mov_b32 s16, ttmp7
	s_add_nc_u64 s[4:5], s[4:5], s[6:7]
	s_mul_i32 s6, ttmp7, s3
	s_lshl_b32 s8, s3, 6
	s_branch .LBB12_6
.LBB12_5:                               ;   in Loop: Header=BB12_6 Depth=1
	s_or_b32 exec_lo, exec_lo, s7
	s_add_co_i32 s16, s16, 64
	s_add_co_i32 s6, s6, s8
	s_wait_alu 0xfffe
	s_cmp_ge_i32 s16, s13
	s_cbranch_scc1 .LBB12_23
.LBB12_6:                               ; =>This Loop Header: Depth=1
                                        ;     Child Loop BB12_8 Depth 2
                                        ;     Child Loop BB12_22 Depth 2
	s_ashr_i32 s7, s6, 31
	v_mov_b32_e32 v15, 0
	s_lshl_b64 s[10:11], s[6:7], 2
	s_wait_alu 0xfffe
	v_add_co_u32 v1, vcc_lo, v9, s10
	s_wait_alu 0xfffd
	v_add_co_ci_u32_e64 v2, null, s11, v10, vcc_lo
	s_and_saveexec_b32 s7, s2
	s_cbranch_execz .LBB12_10
; %bb.7:                                ;   in Loop: Header=BB12_6 Depth=1
	v_dual_mov_b32 v15, 0 :: v_dual_mov_b32 v4, v2
	v_dual_mov_b32 v3, v1 :: v_dual_mov_b32 v16, v5
	v_mov_b32_e32 v17, v0
	s_mov_b32 s9, 0
.LBB12_8:                               ;   Parent Loop BB12_6 Depth=1
                                        ; =>  This Inner Loop Header: Depth=2
	flat_load_b32 v18, v[3:4]
	ds_load_b32 v19, v16
	v_add_nc_u32_e32 v17, 0x100, v17
	v_add_co_u32 v3, vcc_lo, 0x400, v3
	v_add_nc_u32_e32 v16, 0x400, v16
	s_wait_alu 0xfffd
	v_add_co_ci_u32_e64 v4, null, 0, v4, vcc_lo
	v_cmp_le_i32_e64 s3, s12, v17
	s_wait_alu 0xfffe
	s_or_b32 s9, s3, s9
	s_wait_loadcnt_dscnt 0x0
	v_fmac_f32_e32 v15, v19, v18
	s_wait_alu 0xfffe
	s_and_not1_b32 exec_lo, exec_lo, s9
	s_cbranch_execnz .LBB12_8
; %bb.9:                                ;   in Loop: Header=BB12_6 Depth=1
	s_or_b32 exec_lo, exec_lo, s9
.LBB12_10:                              ;   in Loop: Header=BB12_6 Depth=1
	s_delay_alu instid0(SALU_CYCLE_1) | instskip(NEXT) | instid1(SALU_CYCLE_1)
	s_or_b32 exec_lo, exec_lo, s7
	s_and_b32 vcc_lo, exec_lo, s14
	s_wait_alu 0xfffe
	s_cbranch_vccz .LBB12_17
; %bb.11:                               ;   in Loop: Header=BB12_6 Depth=1
	v_cmp_ne_u32_e32 vcc_lo, 31, v8
	s_wait_alu 0xfffd
	v_add_co_ci_u32_e64 v3, null, 0, v8, vcc_lo
	v_cmp_gt_u32_e32 vcc_lo, 30, v8
	s_delay_alu instid0(VALU_DEP_2)
	v_lshlrev_b32_e32 v3, 2, v3
	s_wait_alu 0xfffd
	v_cndmask_b32_e64 v4, 0, 2, vcc_lo
	v_cmp_gt_u32_e32 vcc_lo, 28, v8
	ds_bpermute_b32 v3, v3, v15
	v_add_lshl_u32 v4, v4, v8, 2
	s_wait_alu 0xfffd
	v_cndmask_b32_e64 v16, 0, 4, vcc_lo
	v_cmp_gt_u32_e32 vcc_lo, 24, v8
	s_delay_alu instid0(VALU_DEP_2)
	v_add_lshl_u32 v16, v16, v8, 2
	s_wait_dscnt 0x0
	v_add_f32_e32 v3, v15, v3
	ds_bpermute_b32 v4, v4, v3
	s_wait_dscnt 0x0
	v_add_f32_e32 v3, v3, v4
	ds_bpermute_b32 v4, v16, v3
	s_wait_alu 0xfffd
	v_cndmask_b32_e64 v16, 0, 8, vcc_lo
	s_wait_dscnt 0x0
	v_add_f32_e32 v3, v3, v4
	s_delay_alu instid0(VALU_DEP_2)
	v_add_lshl_u32 v4, v16, v8, 2
	ds_bpermute_b32 v4, v4, v3
	s_wait_dscnt 0x0
	v_add_f32_e32 v3, v3, v4
	ds_bpermute_b32 v4, v11, v3
	s_wait_dscnt 0x0
	v_add_f32_e32 v3, v3, v4
	s_and_saveexec_b32 s3, s0
; %bb.12:                               ;   in Loop: Header=BB12_6 Depth=1
	ds_store_b32 v6, v3 offset:8192
; %bb.13:                               ;   in Loop: Header=BB12_6 Depth=1
	s_wait_alu 0xfffe
	s_or_b32 exec_lo, exec_lo, s3
	s_mov_b32 s7, 0
	s_mov_b32 s3, 0
	s_wait_loadcnt_dscnt 0x0
	s_barrier_signal -1
	s_barrier_wait -1
	global_inv scope:SCOPE_SE
                                        ; implicit-def: $vgpr4
	s_and_saveexec_b32 s9, s1
	s_wait_alu 0xfffe
	s_xor_b32 s9, exec_lo, s9
	s_cbranch_execz .LBB12_15
; %bb.14:                               ;   in Loop: Header=BB12_6 Depth=1
	ds_load_2addr_b32 v[16:17], v12 offset1:1
	ds_load_2addr_b32 v[18:19], v13 offset1:1
	;; [unrolled: 1-line block ×3, first 2 shown]
	ds_load_b32 v4, v7 offset:8220
	s_mov_b32 s3, exec_lo
	s_wait_dscnt 0x3
	v_add_f32_e32 v3, v3, v16
	s_delay_alu instid0(VALU_DEP_1) | instskip(SKIP_1) | instid1(VALU_DEP_1)
	v_add_f32_e32 v3, v3, v17
	s_wait_dscnt 0x2
	v_add_f32_e32 v3, v3, v18
	s_delay_alu instid0(VALU_DEP_1) | instskip(SKIP_1) | instid1(VALU_DEP_1)
	v_add_f32_e32 v3, v3, v19
	;; [unrolled: 4-line block ×3, first 2 shown]
	s_wait_dscnt 0x0
	v_add_f32_e32 v4, v3, v4
.LBB12_15:                              ;   in Loop: Header=BB12_6 Depth=1
	s_wait_alu 0xfffe
	s_or_b32 exec_lo, exec_lo, s9
	s_delay_alu instid0(SALU_CYCLE_1)
	s_and_b32 vcc_lo, exec_lo, s7
	s_wait_alu 0xfffe
	s_cbranch_vccnz .LBB12_18
.LBB12_16:                              ;   in Loop: Header=BB12_6 Depth=1
	v_mov_b32_e32 v15, v4
	s_wait_alu 0xfffe
	s_and_saveexec_b32 s7, s3
	s_cbranch_execnz .LBB12_19
	s_branch .LBB12_20
.LBB12_17:                              ;   in Loop: Header=BB12_6 Depth=1
	s_mov_b32 s3, 0
                                        ; implicit-def: $vgpr4
	s_cbranch_execz .LBB12_16
.LBB12_18:                              ;   in Loop: Header=BB12_6 Depth=1
	s_wait_alu 0xfffe
	s_and_not1_b32 s3, s3, exec_lo
	s_and_b32 s7, s1, exec_lo
	s_wait_alu 0xfffe
	s_or_b32 s3, s3, s7
	s_wait_alu 0xfffe
	s_and_saveexec_b32 s7, s3
.LBB12_19:                              ;   in Loop: Header=BB12_6 Depth=1
	ds_store_b32 v7, v15 offset:8192
.LBB12_20:                              ;   in Loop: Header=BB12_6 Depth=1
	s_or_b32 exec_lo, exec_lo, s7
	s_wait_loadcnt_dscnt 0x0
	s_barrier_signal -1
	s_barrier_wait -1
	global_inv scope:SCOPE_SE
	s_and_saveexec_b32 s7, s2
	s_cbranch_execz .LBB12_5
; %bb.21:                               ;   in Loop: Header=BB12_6 Depth=1
	global_load_b32 v3, v7, s[4:5]
	ds_load_b32 v4, v7 offset:8192
	s_mov_b32 s9, 0
	s_wait_loadcnt 0x0
	v_xor_b32_e32 v15, 0x80000000, v3
	s_wait_dscnt 0x0
	s_delay_alu instid0(VALU_DEP_1)
	v_dual_mov_b32 v3, v5 :: v_dual_mul_f32 v4, v4, v15
	v_mov_b32_e32 v15, v0
.LBB12_22:                              ;   Parent Loop BB12_6 Depth=1
                                        ; =>  This Inner Loop Header: Depth=2
	flat_load_b32 v16, v[1:2]
	ds_load_b32 v17, v3
	v_add_nc_u32_e32 v15, 0x100, v15
	s_wait_loadcnt_dscnt 0x0
	v_dual_fmac_f32 v16, v4, v17 :: v_dual_add_nc_u32 v3, 0x400, v3
	s_delay_alu instid0(VALU_DEP_2)
	v_cmp_le_i32_e32 vcc_lo, s12, v15
	flat_store_b32 v[1:2], v16
	v_add_co_u32 v1, s3, 0x400, v1
	s_wait_alu 0xf1ff
	v_add_co_ci_u32_e64 v2, null, 0, v2, s3
	s_wait_alu 0xfffe
	s_or_b32 s9, vcc_lo, s9
	s_wait_alu 0xfffe
	s_and_not1_b32 exec_lo, exec_lo, s9
	s_cbranch_execnz .LBB12_22
	s_branch .LBB12_5
.LBB12_23:
	s_endpgm
	.section	.rodata,"a",@progbits
	.p2align	6, 0x0
	.amdhsa_kernel _ZN9rocsolver6v33100L22larf_left_kernel_smallILi256EfiPKPfEEvT1_S5_T2_lS5_lPKT0_lS6_lS5_l
		.amdhsa_group_segment_fixed_size 9216
		.amdhsa_private_segment_fixed_size 0
		.amdhsa_kernarg_size 88
		.amdhsa_user_sgpr_count 2
		.amdhsa_user_sgpr_dispatch_ptr 0
		.amdhsa_user_sgpr_queue_ptr 0
		.amdhsa_user_sgpr_kernarg_segment_ptr 1
		.amdhsa_user_sgpr_dispatch_id 0
		.amdhsa_user_sgpr_private_segment_size 0
		.amdhsa_wavefront_size32 1
		.amdhsa_uses_dynamic_stack 0
		.amdhsa_enable_private_segment 0
		.amdhsa_system_sgpr_workgroup_id_x 1
		.amdhsa_system_sgpr_workgroup_id_y 1
		.amdhsa_system_sgpr_workgroup_id_z 0
		.amdhsa_system_sgpr_workgroup_info 0
		.amdhsa_system_vgpr_workitem_id 0
		.amdhsa_next_free_vgpr 22
		.amdhsa_next_free_sgpr 24
		.amdhsa_reserve_vcc 1
		.amdhsa_float_round_mode_32 0
		.amdhsa_float_round_mode_16_64 0
		.amdhsa_float_denorm_mode_32 3
		.amdhsa_float_denorm_mode_16_64 3
		.amdhsa_fp16_overflow 0
		.amdhsa_workgroup_processor_mode 1
		.amdhsa_memory_ordered 1
		.amdhsa_forward_progress 1
		.amdhsa_inst_pref_size 11
		.amdhsa_round_robin_scheduling 0
		.amdhsa_exception_fp_ieee_invalid_op 0
		.amdhsa_exception_fp_denorm_src 0
		.amdhsa_exception_fp_ieee_div_zero 0
		.amdhsa_exception_fp_ieee_overflow 0
		.amdhsa_exception_fp_ieee_underflow 0
		.amdhsa_exception_fp_ieee_inexact 0
		.amdhsa_exception_int_div_zero 0
	.end_amdhsa_kernel
	.section	.text._ZN9rocsolver6v33100L22larf_left_kernel_smallILi256EfiPKPfEEvT1_S5_T2_lS5_lPKT0_lS6_lS5_l,"axG",@progbits,_ZN9rocsolver6v33100L22larf_left_kernel_smallILi256EfiPKPfEEvT1_S5_T2_lS5_lPKT0_lS6_lS5_l,comdat
.Lfunc_end12:
	.size	_ZN9rocsolver6v33100L22larf_left_kernel_smallILi256EfiPKPfEEvT1_S5_T2_lS5_lPKT0_lS6_lS5_l, .Lfunc_end12-_ZN9rocsolver6v33100L22larf_left_kernel_smallILi256EfiPKPfEEvT1_S5_T2_lS5_lPKT0_lS6_lS5_l
                                        ; -- End function
	.set _ZN9rocsolver6v33100L22larf_left_kernel_smallILi256EfiPKPfEEvT1_S5_T2_lS5_lPKT0_lS6_lS5_l.num_vgpr, 22
	.set _ZN9rocsolver6v33100L22larf_left_kernel_smallILi256EfiPKPfEEvT1_S5_T2_lS5_lPKT0_lS6_lS5_l.num_agpr, 0
	.set _ZN9rocsolver6v33100L22larf_left_kernel_smallILi256EfiPKPfEEvT1_S5_T2_lS5_lPKT0_lS6_lS5_l.numbered_sgpr, 24
	.set _ZN9rocsolver6v33100L22larf_left_kernel_smallILi256EfiPKPfEEvT1_S5_T2_lS5_lPKT0_lS6_lS5_l.num_named_barrier, 0
	.set _ZN9rocsolver6v33100L22larf_left_kernel_smallILi256EfiPKPfEEvT1_S5_T2_lS5_lPKT0_lS6_lS5_l.private_seg_size, 0
	.set _ZN9rocsolver6v33100L22larf_left_kernel_smallILi256EfiPKPfEEvT1_S5_T2_lS5_lPKT0_lS6_lS5_l.uses_vcc, 1
	.set _ZN9rocsolver6v33100L22larf_left_kernel_smallILi256EfiPKPfEEvT1_S5_T2_lS5_lPKT0_lS6_lS5_l.uses_flat_scratch, 0
	.set _ZN9rocsolver6v33100L22larf_left_kernel_smallILi256EfiPKPfEEvT1_S5_T2_lS5_lPKT0_lS6_lS5_l.has_dyn_sized_stack, 0
	.set _ZN9rocsolver6v33100L22larf_left_kernel_smallILi256EfiPKPfEEvT1_S5_T2_lS5_lPKT0_lS6_lS5_l.has_recursion, 0
	.set _ZN9rocsolver6v33100L22larf_left_kernel_smallILi256EfiPKPfEEvT1_S5_T2_lS5_lPKT0_lS6_lS5_l.has_indirect_call, 0
	.section	.AMDGPU.csdata,"",@progbits
; Kernel info:
; codeLenInByte = 1296
; TotalNumSgprs: 26
; NumVgprs: 22
; ScratchSize: 0
; MemoryBound: 0
; FloatMode: 240
; IeeeMode: 1
; LDSByteSize: 9216 bytes/workgroup (compile time only)
; SGPRBlocks: 0
; VGPRBlocks: 2
; NumSGPRsForWavesPerEU: 26
; NumVGPRsForWavesPerEU: 22
; Occupancy: 16
; WaveLimiterHint : 1
; COMPUTE_PGM_RSRC2:SCRATCH_EN: 0
; COMPUTE_PGM_RSRC2:USER_SGPR: 2
; COMPUTE_PGM_RSRC2:TRAP_HANDLER: 0
; COMPUTE_PGM_RSRC2:TGID_X_EN: 1
; COMPUTE_PGM_RSRC2:TGID_Y_EN: 1
; COMPUTE_PGM_RSRC2:TGID_Z_EN: 0
; COMPUTE_PGM_RSRC2:TIDIG_COMP_CNT: 0
	.section	.text._ZN9rocsolver6v33100L22larf_left_kernel_smallILi512EfiPKPfEEvT1_S5_T2_lS5_lPKT0_lS6_lS5_l,"axG",@progbits,_ZN9rocsolver6v33100L22larf_left_kernel_smallILi512EfiPKPfEEvT1_S5_T2_lS5_lPKT0_lS6_lS5_l,comdat
	.globl	_ZN9rocsolver6v33100L22larf_left_kernel_smallILi512EfiPKPfEEvT1_S5_T2_lS5_lPKT0_lS6_lS5_l ; -- Begin function _ZN9rocsolver6v33100L22larf_left_kernel_smallILi512EfiPKPfEEvT1_S5_T2_lS5_lPKT0_lS6_lS5_l
	.p2align	8
	.type	_ZN9rocsolver6v33100L22larf_left_kernel_smallILi512EfiPKPfEEvT1_S5_T2_lS5_lPKT0_lS6_lS5_l,@function
_ZN9rocsolver6v33100L22larf_left_kernel_smallILi512EfiPKPfEEvT1_S5_T2_lS5_lPKT0_lS6_lS5_l: ; @_ZN9rocsolver6v33100L22larf_left_kernel_smallILi512EfiPKPfEEvT1_S5_T2_lS5_lPKT0_lS6_lS5_l
; %bb.0:
	s_clause 0x1
	s_load_b256 s[4:11], s[0:1], 0x28
	s_load_b64 s[12:13], s[0:1], 0x0
	s_mov_b32 s14, ttmp9
	s_ashr_i32 s15, ttmp9, 31
	v_lshlrev_b32_e32 v5, 2, v0
	s_lshl_b64 s[16:17], s[14:15], 3
	s_wait_kmcnt 0x0
	s_add_nc_u64 s[2:3], s[8:9], s[16:17]
	s_load_b64 s[8:9], s[2:3], 0x0
	v_cmp_gt_i32_e64 s2, s12, v0
	s_and_saveexec_b32 s3, s2
	s_cbranch_execz .LBB13_3
; %bb.1:
	s_clause 0x1
	s_load_b128 s[20:23], s[0:1], 0x8
	s_load_b32 s19, s[0:1], 0x18
	s_sub_co_i32 s18, 1, s12
	v_dual_mov_b32 v4, v0 :: v_dual_lshlrev_b32 v3, 2, v0
	s_wait_kmcnt 0x0
	s_add_nc_u64 s[16:17], s[20:21], s[16:17]
	s_lshl_b64 s[20:21], s[22:23], 2
	s_load_b64 s[16:17], s[16:17], 0x0
	s_mul_i32 s18, s19, s18
	s_cmp_lt_i32 s19, 1
	s_cselect_b32 s18, s18, 0
	s_delay_alu instid0(SALU_CYCLE_1)
	v_mad_co_u64_u32 v[1:2], null, v0, s19, s[18:19]
	s_mov_b32 s18, 0
	s_lshl_b32 s19, s19, 9
	s_wait_kmcnt 0x0
	s_add_nc_u64 s[16:17], s[16:17], s[20:21]
.LBB13_2:                               ; =>This Inner Loop Header: Depth=1
	v_ashrrev_i32_e32 v2, 31, v1
	v_add_nc_u32_e32 v4, 0x200, v4
	s_delay_alu instid0(VALU_DEP_2) | instskip(SKIP_2) | instid1(VALU_DEP_2)
	v_lshlrev_b64_e32 v[6:7], 2, v[1:2]
	s_wait_alu 0xfffe
	v_add_nc_u32_e32 v1, s19, v1
	v_add_co_u32 v6, vcc_lo, s16, v6
	s_wait_alu 0xfffd
	s_delay_alu instid0(VALU_DEP_3)
	v_add_co_ci_u32_e64 v7, null, s17, v7, vcc_lo
	v_cmp_le_i32_e32 vcc_lo, s12, v4
	flat_load_b32 v2, v[6:7]
	s_or_b32 s18, vcc_lo, s18
	s_wait_loadcnt_dscnt 0x0
	ds_store_b32 v3, v2
	v_add_nc_u32_e32 v3, 0x800, v3
	s_wait_alu 0xfffe
	s_and_not1_b32 exec_lo, exec_lo, s18
	s_cbranch_execnz .LBB13_2
.LBB13_3:
	s_or_b32 exec_lo, exec_lo, s3
	s_cmp_ge_i32 ttmp7, s13
	s_wait_dscnt 0x0
	s_barrier_signal -1
	s_barrier_wait -1
	global_inv scope:SCOPE_SE
	s_cbranch_scc1 .LBB13_23
; %bb.4:
	s_load_b32 s3, s[0:1], 0x48
	s_mul_u64 s[6:7], s[6:7], s[14:15]
	v_dual_mov_b32 v12, 0x2004 :: v_dual_and_b32 v1, 31, v0
	s_lshl_b64 s[6:7], s[6:7], 2
	s_cmp_gt_i32 s12, 1
	v_mbcnt_lo_u32_b32 v8, -1, 0
	s_cselect_b32 s14, -1, 0
	s_lshl_b64 s[10:11], s[10:11], 2
	v_cmp_eq_u32_e64 s0, 0, v1
	s_wait_kmcnt 0x0
	s_add_nc_u64 s[8:9], s[8:9], s[10:11]
	v_lshrrev_b32_e32 v6, 3, v0
	v_add_co_u32 v9, s8, s8, v5
	v_cmp_eq_u32_e64 s1, 0, v0
	v_dual_mov_b32 v7, 0 :: v_dual_mov_b32 v14, 0x2014
	s_wait_alu 0xf1ff
	v_add_co_ci_u32_e64 v10, null, s9, 0, s8
	v_lshl_or_b32 v11, v8, 2, 64
	v_mov_b32_e32 v13, 0x200c
	v_mov_b32_e32 v15, 0x201c
	;; [unrolled: 1-line block ×5, first 2 shown]
	s_mov_b32 s16, ttmp7
	s_add_nc_u64 s[4:5], s[4:5], s[6:7]
	s_mul_i32 s6, ttmp7, s3
	s_lshl_b32 s8, s3, 6
	s_branch .LBB13_6
.LBB13_5:                               ;   in Loop: Header=BB13_6 Depth=1
	s_or_b32 exec_lo, exec_lo, s7
	s_add_co_i32 s16, s16, 64
	s_add_co_i32 s6, s6, s8
	s_wait_alu 0xfffe
	s_cmp_ge_i32 s16, s13
	s_cbranch_scc1 .LBB13_23
.LBB13_6:                               ; =>This Loop Header: Depth=1
                                        ;     Child Loop BB13_8 Depth 2
                                        ;     Child Loop BB13_22 Depth 2
	s_ashr_i32 s7, s6, 31
	v_mov_b32_e32 v19, 0
	s_lshl_b64 s[10:11], s[6:7], 2
	s_wait_alu 0xfffe
	v_add_co_u32 v1, vcc_lo, v9, s10
	s_wait_alu 0xfffd
	v_add_co_ci_u32_e64 v2, null, s11, v10, vcc_lo
	s_and_saveexec_b32 s7, s2
	s_cbranch_execz .LBB13_10
; %bb.7:                                ;   in Loop: Header=BB13_6 Depth=1
	v_dual_mov_b32 v19, 0 :: v_dual_mov_b32 v4, v2
	v_dual_mov_b32 v3, v1 :: v_dual_mov_b32 v20, v5
	v_mov_b32_e32 v21, v0
	s_mov_b32 s9, 0
.LBB13_8:                               ;   Parent Loop BB13_6 Depth=1
                                        ; =>  This Inner Loop Header: Depth=2
	flat_load_b32 v22, v[3:4]
	ds_load_b32 v23, v20
	v_add_nc_u32_e32 v21, 0x200, v21
	v_add_co_u32 v3, vcc_lo, 0x800, v3
	v_add_nc_u32_e32 v20, 0x800, v20
	s_wait_alu 0xfffd
	v_add_co_ci_u32_e64 v4, null, 0, v4, vcc_lo
	v_cmp_le_i32_e64 s3, s12, v21
	s_wait_alu 0xfffe
	s_or_b32 s9, s3, s9
	s_wait_loadcnt_dscnt 0x0
	v_fmac_f32_e32 v19, v23, v22
	s_wait_alu 0xfffe
	s_and_not1_b32 exec_lo, exec_lo, s9
	s_cbranch_execnz .LBB13_8
; %bb.9:                                ;   in Loop: Header=BB13_6 Depth=1
	s_or_b32 exec_lo, exec_lo, s9
.LBB13_10:                              ;   in Loop: Header=BB13_6 Depth=1
	s_delay_alu instid0(SALU_CYCLE_1) | instskip(NEXT) | instid1(SALU_CYCLE_1)
	s_or_b32 exec_lo, exec_lo, s7
	s_and_b32 vcc_lo, exec_lo, s14
	s_wait_alu 0xfffe
	s_cbranch_vccz .LBB13_17
; %bb.11:                               ;   in Loop: Header=BB13_6 Depth=1
	v_cmp_ne_u32_e32 vcc_lo, 31, v8
	s_wait_alu 0xfffd
	v_add_co_ci_u32_e64 v3, null, 0, v8, vcc_lo
	v_cmp_gt_u32_e32 vcc_lo, 30, v8
	s_delay_alu instid0(VALU_DEP_2)
	v_lshlrev_b32_e32 v3, 2, v3
	s_wait_alu 0xfffd
	v_cndmask_b32_e64 v4, 0, 2, vcc_lo
	v_cmp_gt_u32_e32 vcc_lo, 28, v8
	ds_bpermute_b32 v3, v3, v19
	v_add_lshl_u32 v4, v4, v8, 2
	s_wait_alu 0xfffd
	v_cndmask_b32_e64 v20, 0, 4, vcc_lo
	v_cmp_gt_u32_e32 vcc_lo, 24, v8
	s_delay_alu instid0(VALU_DEP_2)
	v_add_lshl_u32 v20, v20, v8, 2
	s_wait_dscnt 0x0
	v_add_f32_e32 v3, v19, v3
	ds_bpermute_b32 v4, v4, v3
	s_wait_dscnt 0x0
	v_add_f32_e32 v3, v3, v4
	ds_bpermute_b32 v4, v20, v3
	s_wait_alu 0xfffd
	v_cndmask_b32_e64 v20, 0, 8, vcc_lo
	s_wait_dscnt 0x0
	v_add_f32_e32 v3, v3, v4
	s_delay_alu instid0(VALU_DEP_2)
	v_add_lshl_u32 v4, v20, v8, 2
	ds_bpermute_b32 v4, v4, v3
	s_wait_dscnt 0x0
	v_add_f32_e32 v3, v3, v4
	ds_bpermute_b32 v4, v11, v3
	s_wait_dscnt 0x0
	v_add_f32_e32 v3, v3, v4
	s_and_saveexec_b32 s3, s0
; %bb.12:                               ;   in Loop: Header=BB13_6 Depth=1
	ds_store_b32 v6, v3 offset:8192
; %bb.13:                               ;   in Loop: Header=BB13_6 Depth=1
	s_wait_alu 0xfffe
	s_or_b32 exec_lo, exec_lo, s3
	s_mov_b32 s7, 0
	s_mov_b32 s3, 0
	s_wait_loadcnt_dscnt 0x0
	s_barrier_signal -1
	s_barrier_wait -1
	global_inv scope:SCOPE_SE
                                        ; implicit-def: $vgpr4
	s_and_saveexec_b32 s9, s1
	s_wait_alu 0xfffe
	s_xor_b32 s9, exec_lo, s9
	s_cbranch_execz .LBB13_15
; %bb.14:                               ;   in Loop: Header=BB13_6 Depth=1
	ds_load_2addr_b32 v[20:21], v12 offset1:1
	ds_load_2addr_b32 v[22:23], v13 offset1:1
	;; [unrolled: 1-line block ×4, first 2 shown]
	s_mov_b32 s3, exec_lo
	s_wait_dscnt 0x3
	v_add_f32_e32 v3, v3, v20
	s_delay_alu instid0(VALU_DEP_1) | instskip(SKIP_1) | instid1(VALU_DEP_1)
	v_add_f32_e32 v3, v3, v21
	s_wait_dscnt 0x2
	v_add_f32_e32 v3, v3, v22
	s_delay_alu instid0(VALU_DEP_1) | instskip(SKIP_1) | instid1(VALU_DEP_1)
	v_add_f32_e32 v3, v3, v23
	s_wait_dscnt 0x1
	v_add_f32_e32 v20, v3, v24
	ds_load_2addr_b32 v[3:4], v16 offset1:1
	v_add_f32_e32 v20, v20, v25
	s_wait_dscnt 0x1
	s_delay_alu instid0(VALU_DEP_1)
	v_add_f32_e32 v22, v20, v26
	ds_load_2addr_b32 v[20:21], v17 offset1:1
	v_add_f32_e32 v24, v22, v27
	ds_load_2addr_b32 v[22:23], v18 offset1:1
	ds_load_b32 v25, v7 offset:8252
	s_wait_dscnt 0x3
	v_add_f32_e32 v3, v24, v3
	s_delay_alu instid0(VALU_DEP_1) | instskip(SKIP_1) | instid1(VALU_DEP_1)
	v_add_f32_e32 v3, v3, v4
	s_wait_dscnt 0x2
	v_add_f32_e32 v3, v3, v20
	s_delay_alu instid0(VALU_DEP_1) | instskip(SKIP_1) | instid1(VALU_DEP_1)
	v_add_f32_e32 v3, v3, v21
	;; [unrolled: 4-line block ×3, first 2 shown]
	s_wait_dscnt 0x0
	v_add_f32_e32 v4, v3, v25
.LBB13_15:                              ;   in Loop: Header=BB13_6 Depth=1
	s_wait_alu 0xfffe
	s_or_b32 exec_lo, exec_lo, s9
	s_delay_alu instid0(SALU_CYCLE_1)
	s_and_b32 vcc_lo, exec_lo, s7
	s_wait_alu 0xfffe
	s_cbranch_vccnz .LBB13_18
.LBB13_16:                              ;   in Loop: Header=BB13_6 Depth=1
	v_mov_b32_e32 v19, v4
	s_wait_alu 0xfffe
	s_and_saveexec_b32 s7, s3
	s_cbranch_execnz .LBB13_19
	s_branch .LBB13_20
.LBB13_17:                              ;   in Loop: Header=BB13_6 Depth=1
	s_mov_b32 s3, 0
                                        ; implicit-def: $vgpr4
	s_cbranch_execz .LBB13_16
.LBB13_18:                              ;   in Loop: Header=BB13_6 Depth=1
	s_wait_alu 0xfffe
	s_and_not1_b32 s3, s3, exec_lo
	s_and_b32 s7, s1, exec_lo
	s_wait_alu 0xfffe
	s_or_b32 s3, s3, s7
	s_wait_alu 0xfffe
	s_and_saveexec_b32 s7, s3
.LBB13_19:                              ;   in Loop: Header=BB13_6 Depth=1
	ds_store_b32 v7, v19 offset:8192
.LBB13_20:                              ;   in Loop: Header=BB13_6 Depth=1
	s_or_b32 exec_lo, exec_lo, s7
	s_wait_loadcnt_dscnt 0x0
	s_barrier_signal -1
	s_barrier_wait -1
	global_inv scope:SCOPE_SE
	s_and_saveexec_b32 s7, s2
	s_cbranch_execz .LBB13_5
; %bb.21:                               ;   in Loop: Header=BB13_6 Depth=1
	global_load_b32 v3, v7, s[4:5]
	ds_load_b32 v4, v7 offset:8192
	s_mov_b32 s9, 0
	s_wait_loadcnt 0x0
	v_xor_b32_e32 v19, 0x80000000, v3
	s_wait_dscnt 0x0
	s_delay_alu instid0(VALU_DEP_1)
	v_dual_mov_b32 v3, v5 :: v_dual_mul_f32 v4, v4, v19
	v_mov_b32_e32 v19, v0
.LBB13_22:                              ;   Parent Loop BB13_6 Depth=1
                                        ; =>  This Inner Loop Header: Depth=2
	flat_load_b32 v20, v[1:2]
	ds_load_b32 v21, v3
	v_add_nc_u32_e32 v19, 0x200, v19
	s_wait_loadcnt_dscnt 0x0
	v_dual_fmac_f32 v20, v4, v21 :: v_dual_add_nc_u32 v3, 0x800, v3
	s_delay_alu instid0(VALU_DEP_2)
	v_cmp_le_i32_e32 vcc_lo, s12, v19
	flat_store_b32 v[1:2], v20
	v_add_co_u32 v1, s3, 0x800, v1
	s_wait_alu 0xf1ff
	v_add_co_ci_u32_e64 v2, null, 0, v2, s3
	s_wait_alu 0xfffe
	s_or_b32 s9, vcc_lo, s9
	s_wait_alu 0xfffe
	s_and_not1_b32 exec_lo, exec_lo, s9
	s_cbranch_execnz .LBB13_22
	s_branch .LBB13_5
.LBB13_23:
	s_endpgm
	.section	.rodata,"a",@progbits
	.p2align	6, 0x0
	.amdhsa_kernel _ZN9rocsolver6v33100L22larf_left_kernel_smallILi512EfiPKPfEEvT1_S5_T2_lS5_lPKT0_lS6_lS5_l
		.amdhsa_group_segment_fixed_size 10240
		.amdhsa_private_segment_fixed_size 0
		.amdhsa_kernarg_size 88
		.amdhsa_user_sgpr_count 2
		.amdhsa_user_sgpr_dispatch_ptr 0
		.amdhsa_user_sgpr_queue_ptr 0
		.amdhsa_user_sgpr_kernarg_segment_ptr 1
		.amdhsa_user_sgpr_dispatch_id 0
		.amdhsa_user_sgpr_private_segment_size 0
		.amdhsa_wavefront_size32 1
		.amdhsa_uses_dynamic_stack 0
		.amdhsa_enable_private_segment 0
		.amdhsa_system_sgpr_workgroup_id_x 1
		.amdhsa_system_sgpr_workgroup_id_y 1
		.amdhsa_system_sgpr_workgroup_id_z 0
		.amdhsa_system_sgpr_workgroup_info 0
		.amdhsa_system_vgpr_workitem_id 0
		.amdhsa_next_free_vgpr 28
		.amdhsa_next_free_sgpr 24
		.amdhsa_reserve_vcc 1
		.amdhsa_float_round_mode_32 0
		.amdhsa_float_round_mode_16_64 0
		.amdhsa_float_denorm_mode_32 3
		.amdhsa_float_denorm_mode_16_64 3
		.amdhsa_fp16_overflow 0
		.amdhsa_workgroup_processor_mode 1
		.amdhsa_memory_ordered 1
		.amdhsa_forward_progress 1
		.amdhsa_inst_pref_size 12
		.amdhsa_round_robin_scheduling 0
		.amdhsa_exception_fp_ieee_invalid_op 0
		.amdhsa_exception_fp_denorm_src 0
		.amdhsa_exception_fp_ieee_div_zero 0
		.amdhsa_exception_fp_ieee_overflow 0
		.amdhsa_exception_fp_ieee_underflow 0
		.amdhsa_exception_fp_ieee_inexact 0
		.amdhsa_exception_int_div_zero 0
	.end_amdhsa_kernel
	.section	.text._ZN9rocsolver6v33100L22larf_left_kernel_smallILi512EfiPKPfEEvT1_S5_T2_lS5_lPKT0_lS6_lS5_l,"axG",@progbits,_ZN9rocsolver6v33100L22larf_left_kernel_smallILi512EfiPKPfEEvT1_S5_T2_lS5_lPKT0_lS6_lS5_l,comdat
.Lfunc_end13:
	.size	_ZN9rocsolver6v33100L22larf_left_kernel_smallILi512EfiPKPfEEvT1_S5_T2_lS5_lPKT0_lS6_lS5_l, .Lfunc_end13-_ZN9rocsolver6v33100L22larf_left_kernel_smallILi512EfiPKPfEEvT1_S5_T2_lS5_lPKT0_lS6_lS5_l
                                        ; -- End function
	.set _ZN9rocsolver6v33100L22larf_left_kernel_smallILi512EfiPKPfEEvT1_S5_T2_lS5_lPKT0_lS6_lS5_l.num_vgpr, 28
	.set _ZN9rocsolver6v33100L22larf_left_kernel_smallILi512EfiPKPfEEvT1_S5_T2_lS5_lPKT0_lS6_lS5_l.num_agpr, 0
	.set _ZN9rocsolver6v33100L22larf_left_kernel_smallILi512EfiPKPfEEvT1_S5_T2_lS5_lPKT0_lS6_lS5_l.numbered_sgpr, 24
	.set _ZN9rocsolver6v33100L22larf_left_kernel_smallILi512EfiPKPfEEvT1_S5_T2_lS5_lPKT0_lS6_lS5_l.num_named_barrier, 0
	.set _ZN9rocsolver6v33100L22larf_left_kernel_smallILi512EfiPKPfEEvT1_S5_T2_lS5_lPKT0_lS6_lS5_l.private_seg_size, 0
	.set _ZN9rocsolver6v33100L22larf_left_kernel_smallILi512EfiPKPfEEvT1_S5_T2_lS5_lPKT0_lS6_lS5_l.uses_vcc, 1
	.set _ZN9rocsolver6v33100L22larf_left_kernel_smallILi512EfiPKPfEEvT1_S5_T2_lS5_lPKT0_lS6_lS5_l.uses_flat_scratch, 0
	.set _ZN9rocsolver6v33100L22larf_left_kernel_smallILi512EfiPKPfEEvT1_S5_T2_lS5_lPKT0_lS6_lS5_l.has_dyn_sized_stack, 0
	.set _ZN9rocsolver6v33100L22larf_left_kernel_smallILi512EfiPKPfEEvT1_S5_T2_lS5_lPKT0_lS6_lS5_l.has_recursion, 0
	.set _ZN9rocsolver6v33100L22larf_left_kernel_smallILi512EfiPKPfEEvT1_S5_T2_lS5_lPKT0_lS6_lS5_l.has_indirect_call, 0
	.section	.AMDGPU.csdata,"",@progbits
; Kernel info:
; codeLenInByte = 1420
; TotalNumSgprs: 26
; NumVgprs: 28
; ScratchSize: 0
; MemoryBound: 0
; FloatMode: 240
; IeeeMode: 1
; LDSByteSize: 10240 bytes/workgroup (compile time only)
; SGPRBlocks: 0
; VGPRBlocks: 3
; NumSGPRsForWavesPerEU: 26
; NumVGPRsForWavesPerEU: 28
; Occupancy: 16
; WaveLimiterHint : 1
; COMPUTE_PGM_RSRC2:SCRATCH_EN: 0
; COMPUTE_PGM_RSRC2:USER_SGPR: 2
; COMPUTE_PGM_RSRC2:TRAP_HANDLER: 0
; COMPUTE_PGM_RSRC2:TGID_X_EN: 1
; COMPUTE_PGM_RSRC2:TGID_Y_EN: 1
; COMPUTE_PGM_RSRC2:TGID_Z_EN: 0
; COMPUTE_PGM_RSRC2:TIDIG_COMP_CNT: 0
	.section	.text._ZN9rocsolver6v33100L22larf_left_kernel_smallILi1024EfiPKPfEEvT1_S5_T2_lS5_lPKT0_lS6_lS5_l,"axG",@progbits,_ZN9rocsolver6v33100L22larf_left_kernel_smallILi1024EfiPKPfEEvT1_S5_T2_lS5_lPKT0_lS6_lS5_l,comdat
	.globl	_ZN9rocsolver6v33100L22larf_left_kernel_smallILi1024EfiPKPfEEvT1_S5_T2_lS5_lPKT0_lS6_lS5_l ; -- Begin function _ZN9rocsolver6v33100L22larf_left_kernel_smallILi1024EfiPKPfEEvT1_S5_T2_lS5_lPKT0_lS6_lS5_l
	.p2align	8
	.type	_ZN9rocsolver6v33100L22larf_left_kernel_smallILi1024EfiPKPfEEvT1_S5_T2_lS5_lPKT0_lS6_lS5_l,@function
_ZN9rocsolver6v33100L22larf_left_kernel_smallILi1024EfiPKPfEEvT1_S5_T2_lS5_lPKT0_lS6_lS5_l: ; @_ZN9rocsolver6v33100L22larf_left_kernel_smallILi1024EfiPKPfEEvT1_S5_T2_lS5_lPKT0_lS6_lS5_l
; %bb.0:
	s_clause 0x1
	s_load_b256 s[4:11], s[0:1], 0x28
	s_load_b64 s[12:13], s[0:1], 0x0
	s_mov_b32 s14, ttmp9
	s_ashr_i32 s15, ttmp9, 31
	v_lshlrev_b32_e32 v5, 2, v0
	s_lshl_b64 s[16:17], s[14:15], 3
	s_wait_kmcnt 0x0
	s_add_nc_u64 s[2:3], s[8:9], s[16:17]
	s_load_b64 s[8:9], s[2:3], 0x0
	v_cmp_gt_i32_e64 s2, s12, v0
	s_and_saveexec_b32 s3, s2
	s_cbranch_execz .LBB14_3
; %bb.1:
	s_clause 0x1
	s_load_b128 s[20:23], s[0:1], 0x8
	s_load_b32 s19, s[0:1], 0x18
	s_sub_co_i32 s18, 1, s12
	v_dual_mov_b32 v4, v0 :: v_dual_lshlrev_b32 v3, 2, v0
	s_wait_kmcnt 0x0
	s_add_nc_u64 s[16:17], s[20:21], s[16:17]
	s_lshl_b64 s[20:21], s[22:23], 2
	s_load_b64 s[16:17], s[16:17], 0x0
	s_mul_i32 s18, s19, s18
	s_cmp_lt_i32 s19, 1
	s_cselect_b32 s18, s18, 0
	s_delay_alu instid0(SALU_CYCLE_1)
	v_mad_co_u64_u32 v[1:2], null, v0, s19, s[18:19]
	s_mov_b32 s18, 0
	s_lshl_b32 s19, s19, 10
	s_wait_kmcnt 0x0
	s_add_nc_u64 s[16:17], s[16:17], s[20:21]
.LBB14_2:                               ; =>This Inner Loop Header: Depth=1
	v_ashrrev_i32_e32 v2, 31, v1
	v_add_nc_u32_e32 v4, 0x400, v4
	s_delay_alu instid0(VALU_DEP_2) | instskip(SKIP_2) | instid1(VALU_DEP_2)
	v_lshlrev_b64_e32 v[6:7], 2, v[1:2]
	s_wait_alu 0xfffe
	v_add_nc_u32_e32 v1, s19, v1
	v_add_co_u32 v6, vcc_lo, s16, v6
	s_wait_alu 0xfffd
	s_delay_alu instid0(VALU_DEP_3)
	v_add_co_ci_u32_e64 v7, null, s17, v7, vcc_lo
	v_cmp_le_i32_e32 vcc_lo, s12, v4
	flat_load_b32 v2, v[6:7]
	s_or_b32 s18, vcc_lo, s18
	s_wait_loadcnt_dscnt 0x0
	ds_store_b32 v3, v2
	v_add_nc_u32_e32 v3, 0x1000, v3
	s_wait_alu 0xfffe
	s_and_not1_b32 exec_lo, exec_lo, s18
	s_cbranch_execnz .LBB14_2
.LBB14_3:
	s_or_b32 exec_lo, exec_lo, s3
	s_cmp_ge_i32 ttmp7, s13
	s_wait_dscnt 0x0
	s_barrier_signal -1
	s_barrier_wait -1
	global_inv scope:SCOPE_SE
	s_cbranch_scc1 .LBB14_23
; %bb.4:
	s_load_b32 s3, s[0:1], 0x48
	s_mul_u64 s[6:7], s[6:7], s[14:15]
	v_dual_mov_b32 v12, 0x2004 :: v_dual_and_b32 v1, 31, v0
	s_lshl_b64 s[6:7], s[6:7], 2
	s_cmp_gt_i32 s12, 1
	v_mbcnt_lo_u32_b32 v8, -1, 0
	s_cselect_b32 s14, -1, 0
	s_lshl_b64 s[10:11], s[10:11], 2
	v_cmp_eq_u32_e64 s0, 0, v1
	s_wait_kmcnt 0x0
	s_add_nc_u64 s[8:9], s[8:9], s[10:11]
	v_lshrrev_b32_e32 v6, 3, v0
	v_add_co_u32 v9, s8, s8, v5
	v_cmp_eq_u32_e64 s1, 0, v0
	v_dual_mov_b32 v7, 0 :: v_dual_mov_b32 v14, 0x2014
	s_wait_alu 0xf1ff
	v_add_co_ci_u32_e64 v10, null, s9, 0, s8
	v_lshl_or_b32 v11, v8, 2, 64
	v_mov_b32_e32 v13, 0x200c
	v_mov_b32_e32 v15, 0x201c
	;; [unrolled: 1-line block ×13, first 2 shown]
	s_mov_b32 s16, ttmp7
	s_add_nc_u64 s[4:5], s[4:5], s[6:7]
	s_mul_i32 s6, ttmp7, s3
	s_lshl_b32 s8, s3, 6
	s_branch .LBB14_6
.LBB14_5:                               ;   in Loop: Header=BB14_6 Depth=1
	s_or_b32 exec_lo, exec_lo, s7
	s_add_co_i32 s16, s16, 64
	s_add_co_i32 s6, s6, s8
	s_wait_alu 0xfffe
	s_cmp_ge_i32 s16, s13
	s_cbranch_scc1 .LBB14_23
.LBB14_6:                               ; =>This Loop Header: Depth=1
                                        ;     Child Loop BB14_8 Depth 2
                                        ;     Child Loop BB14_22 Depth 2
	s_ashr_i32 s7, s6, 31
	v_mov_b32_e32 v27, 0
	s_lshl_b64 s[10:11], s[6:7], 2
	s_wait_alu 0xfffe
	v_add_co_u32 v1, vcc_lo, v9, s10
	s_wait_alu 0xfffd
	v_add_co_ci_u32_e64 v2, null, s11, v10, vcc_lo
	s_and_saveexec_b32 s7, s2
	s_cbranch_execz .LBB14_10
; %bb.7:                                ;   in Loop: Header=BB14_6 Depth=1
	v_dual_mov_b32 v27, 0 :: v_dual_mov_b32 v4, v2
	v_dual_mov_b32 v3, v1 :: v_dual_mov_b32 v28, v5
	v_mov_b32_e32 v29, v0
	s_mov_b32 s9, 0
.LBB14_8:                               ;   Parent Loop BB14_6 Depth=1
                                        ; =>  This Inner Loop Header: Depth=2
	flat_load_b32 v30, v[3:4]
	ds_load_b32 v31, v28
	v_add_nc_u32_e32 v29, 0x400, v29
	v_add_co_u32 v3, vcc_lo, 0x1000, v3
	v_add_nc_u32_e32 v28, 0x1000, v28
	s_wait_alu 0xfffd
	v_add_co_ci_u32_e64 v4, null, 0, v4, vcc_lo
	v_cmp_le_i32_e64 s3, s12, v29
	s_wait_alu 0xfffe
	s_or_b32 s9, s3, s9
	s_wait_loadcnt_dscnt 0x0
	v_fmac_f32_e32 v27, v31, v30
	s_wait_alu 0xfffe
	s_and_not1_b32 exec_lo, exec_lo, s9
	s_cbranch_execnz .LBB14_8
; %bb.9:                                ;   in Loop: Header=BB14_6 Depth=1
	s_or_b32 exec_lo, exec_lo, s9
.LBB14_10:                              ;   in Loop: Header=BB14_6 Depth=1
	s_delay_alu instid0(SALU_CYCLE_1) | instskip(NEXT) | instid1(SALU_CYCLE_1)
	s_or_b32 exec_lo, exec_lo, s7
	s_and_b32 vcc_lo, exec_lo, s14
	s_wait_alu 0xfffe
	s_cbranch_vccz .LBB14_17
; %bb.11:                               ;   in Loop: Header=BB14_6 Depth=1
	v_cmp_ne_u32_e32 vcc_lo, 31, v8
	s_wait_alu 0xfffd
	v_add_co_ci_u32_e64 v3, null, 0, v8, vcc_lo
	v_cmp_gt_u32_e32 vcc_lo, 30, v8
	s_delay_alu instid0(VALU_DEP_2)
	v_lshlrev_b32_e32 v3, 2, v3
	s_wait_alu 0xfffd
	v_cndmask_b32_e64 v4, 0, 2, vcc_lo
	v_cmp_gt_u32_e32 vcc_lo, 28, v8
	ds_bpermute_b32 v3, v3, v27
	v_add_lshl_u32 v4, v4, v8, 2
	s_wait_alu 0xfffd
	v_cndmask_b32_e64 v28, 0, 4, vcc_lo
	v_cmp_gt_u32_e32 vcc_lo, 24, v8
	s_delay_alu instid0(VALU_DEP_2)
	v_add_lshl_u32 v28, v28, v8, 2
	s_wait_dscnt 0x0
	v_add_f32_e32 v3, v27, v3
	ds_bpermute_b32 v4, v4, v3
	s_wait_dscnt 0x0
	v_add_f32_e32 v3, v3, v4
	ds_bpermute_b32 v4, v28, v3
	s_wait_alu 0xfffd
	v_cndmask_b32_e64 v28, 0, 8, vcc_lo
	s_wait_dscnt 0x0
	v_add_f32_e32 v3, v3, v4
	s_delay_alu instid0(VALU_DEP_2)
	v_add_lshl_u32 v4, v28, v8, 2
	ds_bpermute_b32 v4, v4, v3
	s_wait_dscnt 0x0
	v_add_f32_e32 v3, v3, v4
	ds_bpermute_b32 v4, v11, v3
	s_wait_dscnt 0x0
	v_add_f32_e32 v3, v3, v4
	s_and_saveexec_b32 s3, s0
; %bb.12:                               ;   in Loop: Header=BB14_6 Depth=1
	ds_store_b32 v6, v3 offset:8192
; %bb.13:                               ;   in Loop: Header=BB14_6 Depth=1
	s_wait_alu 0xfffe
	s_or_b32 exec_lo, exec_lo, s3
	s_mov_b32 s7, 0
	s_mov_b32 s3, 0
	s_wait_loadcnt_dscnt 0x0
	s_barrier_signal -1
	s_barrier_wait -1
	global_inv scope:SCOPE_SE
                                        ; implicit-def: $vgpr4
	s_and_saveexec_b32 s9, s1
	s_wait_alu 0xfffe
	s_xor_b32 s9, exec_lo, s9
	s_cbranch_execz .LBB14_15
; %bb.14:                               ;   in Loop: Header=BB14_6 Depth=1
	ds_load_2addr_b32 v[28:29], v12 offset1:1
	ds_load_2addr_b32 v[30:31], v13 offset1:1
	ds_load_2addr_b32 v[32:33], v14 offset1:1
	ds_load_2addr_b32 v[34:35], v15 offset1:1
	s_mov_b32 s3, exec_lo
	s_wait_dscnt 0x3
	v_add_f32_e32 v3, v3, v28
	s_delay_alu instid0(VALU_DEP_1) | instskip(SKIP_1) | instid1(VALU_DEP_1)
	v_add_f32_e32 v3, v3, v29
	s_wait_dscnt 0x2
	v_add_f32_e32 v3, v3, v30
	s_delay_alu instid0(VALU_DEP_1) | instskip(SKIP_3) | instid1(VALU_DEP_1)
	v_add_f32_e32 v28, v3, v31
	ds_load_2addr_b32 v[3:4], v16 offset1:1
	s_wait_dscnt 0x2
	v_add_f32_e32 v28, v28, v32
	v_add_f32_e32 v30, v28, v33
	ds_load_2addr_b32 v[28:29], v17 offset1:1
	s_wait_dscnt 0x2
	v_add_f32_e32 v30, v30, v34
	s_delay_alu instid0(VALU_DEP_1) | instskip(SKIP_4) | instid1(VALU_DEP_1)
	v_add_f32_e32 v34, v30, v35
	ds_load_2addr_b32 v[30:31], v18 offset1:1
	ds_load_2addr_b32 v[32:33], v19 offset1:1
	s_wait_dscnt 0x3
	v_add_f32_e32 v3, v34, v3
	v_add_f32_e32 v3, v3, v4
	s_wait_dscnt 0x2
	s_delay_alu instid0(VALU_DEP_1) | instskip(NEXT) | instid1(VALU_DEP_1)
	v_add_f32_e32 v3, v3, v28
	v_add_f32_e32 v28, v3, v29
	ds_load_2addr_b32 v[3:4], v20 offset1:1
	s_wait_dscnt 0x2
	v_add_f32_e32 v28, v28, v30
	s_delay_alu instid0(VALU_DEP_1) | instskip(SKIP_3) | instid1(VALU_DEP_1)
	v_add_f32_e32 v30, v28, v31
	ds_load_2addr_b32 v[28:29], v21 offset1:1
	s_wait_dscnt 0x2
	v_add_f32_e32 v30, v30, v32
	v_add_f32_e32 v34, v30, v33
	ds_load_2addr_b32 v[30:31], v22 offset1:1
	ds_load_2addr_b32 v[32:33], v23 offset1:1
	s_wait_dscnt 0x3
	v_add_f32_e32 v3, v34, v3
	s_delay_alu instid0(VALU_DEP_1) | instskip(SKIP_1) | instid1(VALU_DEP_1)
	v_add_f32_e32 v3, v3, v4
	s_wait_dscnt 0x2
	v_add_f32_e32 v3, v3, v28
	s_delay_alu instid0(VALU_DEP_1) | instskip(SKIP_1) | instid1(VALU_DEP_1)
	v_add_f32_e32 v3, v3, v29
	s_wait_dscnt 0x1
	v_add_f32_e32 v28, v3, v30
	ds_load_2addr_b32 v[3:4], v24 offset1:1
	v_add_f32_e32 v28, v28, v31
	s_wait_dscnt 0x1
	s_delay_alu instid0(VALU_DEP_1)
	v_add_f32_e32 v30, v28, v32
	ds_load_2addr_b32 v[28:29], v25 offset1:1
	v_add_f32_e32 v32, v30, v33
	ds_load_2addr_b32 v[30:31], v26 offset1:1
	ds_load_b32 v33, v7 offset:8316
	s_wait_dscnt 0x3
	v_add_f32_e32 v3, v32, v3
	s_delay_alu instid0(VALU_DEP_1) | instskip(SKIP_1) | instid1(VALU_DEP_1)
	v_add_f32_e32 v3, v3, v4
	s_wait_dscnt 0x2
	v_add_f32_e32 v3, v3, v28
	s_delay_alu instid0(VALU_DEP_1) | instskip(SKIP_1) | instid1(VALU_DEP_1)
	v_add_f32_e32 v3, v3, v29
	;; [unrolled: 4-line block ×3, first 2 shown]
	s_wait_dscnt 0x0
	v_add_f32_e32 v4, v3, v33
.LBB14_15:                              ;   in Loop: Header=BB14_6 Depth=1
	s_wait_alu 0xfffe
	s_or_b32 exec_lo, exec_lo, s9
	s_delay_alu instid0(SALU_CYCLE_1)
	s_and_b32 vcc_lo, exec_lo, s7
	s_wait_alu 0xfffe
	s_cbranch_vccnz .LBB14_18
.LBB14_16:                              ;   in Loop: Header=BB14_6 Depth=1
	v_mov_b32_e32 v27, v4
	s_wait_alu 0xfffe
	s_and_saveexec_b32 s7, s3
	s_cbranch_execnz .LBB14_19
	s_branch .LBB14_20
.LBB14_17:                              ;   in Loop: Header=BB14_6 Depth=1
	s_mov_b32 s3, 0
                                        ; implicit-def: $vgpr4
	s_cbranch_execz .LBB14_16
.LBB14_18:                              ;   in Loop: Header=BB14_6 Depth=1
	s_wait_alu 0xfffe
	s_and_not1_b32 s3, s3, exec_lo
	s_and_b32 s7, s1, exec_lo
	s_wait_alu 0xfffe
	s_or_b32 s3, s3, s7
	s_wait_alu 0xfffe
	s_and_saveexec_b32 s7, s3
.LBB14_19:                              ;   in Loop: Header=BB14_6 Depth=1
	ds_store_b32 v7, v27 offset:8192
.LBB14_20:                              ;   in Loop: Header=BB14_6 Depth=1
	s_or_b32 exec_lo, exec_lo, s7
	s_wait_loadcnt_dscnt 0x0
	s_barrier_signal -1
	s_barrier_wait -1
	global_inv scope:SCOPE_SE
	s_and_saveexec_b32 s7, s2
	s_cbranch_execz .LBB14_5
; %bb.21:                               ;   in Loop: Header=BB14_6 Depth=1
	global_load_b32 v3, v7, s[4:5]
	ds_load_b32 v4, v7 offset:8192
	s_mov_b32 s9, 0
	s_wait_loadcnt 0x0
	v_xor_b32_e32 v27, 0x80000000, v3
	s_wait_dscnt 0x0
	s_delay_alu instid0(VALU_DEP_1)
	v_dual_mov_b32 v3, v5 :: v_dual_mul_f32 v4, v4, v27
	v_mov_b32_e32 v27, v0
.LBB14_22:                              ;   Parent Loop BB14_6 Depth=1
                                        ; =>  This Inner Loop Header: Depth=2
	flat_load_b32 v28, v[1:2]
	ds_load_b32 v29, v3
	v_add_nc_u32_e32 v27, 0x400, v27
	s_wait_loadcnt_dscnt 0x0
	v_dual_fmac_f32 v28, v4, v29 :: v_dual_add_nc_u32 v3, 0x1000, v3
	s_delay_alu instid0(VALU_DEP_2)
	v_cmp_le_i32_e32 vcc_lo, s12, v27
	flat_store_b32 v[1:2], v28
	v_add_co_u32 v1, s3, 0x1000, v1
	s_wait_alu 0xf1ff
	v_add_co_ci_u32_e64 v2, null, 0, v2, s3
	s_wait_alu 0xfffe
	s_or_b32 s9, vcc_lo, s9
	s_wait_alu 0xfffe
	s_and_not1_b32 exec_lo, exec_lo, s9
	s_cbranch_execnz .LBB14_22
	s_branch .LBB14_5
.LBB14_23:
	s_endpgm
	.section	.rodata,"a",@progbits
	.p2align	6, 0x0
	.amdhsa_kernel _ZN9rocsolver6v33100L22larf_left_kernel_smallILi1024EfiPKPfEEvT1_S5_T2_lS5_lPKT0_lS6_lS5_l
		.amdhsa_group_segment_fixed_size 12288
		.amdhsa_private_segment_fixed_size 0
		.amdhsa_kernarg_size 88
		.amdhsa_user_sgpr_count 2
		.amdhsa_user_sgpr_dispatch_ptr 0
		.amdhsa_user_sgpr_queue_ptr 0
		.amdhsa_user_sgpr_kernarg_segment_ptr 1
		.amdhsa_user_sgpr_dispatch_id 0
		.amdhsa_user_sgpr_private_segment_size 0
		.amdhsa_wavefront_size32 1
		.amdhsa_uses_dynamic_stack 0
		.amdhsa_enable_private_segment 0
		.amdhsa_system_sgpr_workgroup_id_x 1
		.amdhsa_system_sgpr_workgroup_id_y 1
		.amdhsa_system_sgpr_workgroup_id_z 0
		.amdhsa_system_sgpr_workgroup_info 0
		.amdhsa_system_vgpr_workitem_id 0
		.amdhsa_next_free_vgpr 36
		.amdhsa_next_free_sgpr 24
		.amdhsa_reserve_vcc 1
		.amdhsa_float_round_mode_32 0
		.amdhsa_float_round_mode_16_64 0
		.amdhsa_float_denorm_mode_32 3
		.amdhsa_float_denorm_mode_16_64 3
		.amdhsa_fp16_overflow 0
		.amdhsa_workgroup_processor_mode 1
		.amdhsa_memory_ordered 1
		.amdhsa_forward_progress 1
		.amdhsa_inst_pref_size 13
		.amdhsa_round_robin_scheduling 0
		.amdhsa_exception_fp_ieee_invalid_op 0
		.amdhsa_exception_fp_denorm_src 0
		.amdhsa_exception_fp_ieee_div_zero 0
		.amdhsa_exception_fp_ieee_overflow 0
		.amdhsa_exception_fp_ieee_underflow 0
		.amdhsa_exception_fp_ieee_inexact 0
		.amdhsa_exception_int_div_zero 0
	.end_amdhsa_kernel
	.section	.text._ZN9rocsolver6v33100L22larf_left_kernel_smallILi1024EfiPKPfEEvT1_S5_T2_lS5_lPKT0_lS6_lS5_l,"axG",@progbits,_ZN9rocsolver6v33100L22larf_left_kernel_smallILi1024EfiPKPfEEvT1_S5_T2_lS5_lPKT0_lS6_lS5_l,comdat
.Lfunc_end14:
	.size	_ZN9rocsolver6v33100L22larf_left_kernel_smallILi1024EfiPKPfEEvT1_S5_T2_lS5_lPKT0_lS6_lS5_l, .Lfunc_end14-_ZN9rocsolver6v33100L22larf_left_kernel_smallILi1024EfiPKPfEEvT1_S5_T2_lS5_lPKT0_lS6_lS5_l
                                        ; -- End function
	.set _ZN9rocsolver6v33100L22larf_left_kernel_smallILi1024EfiPKPfEEvT1_S5_T2_lS5_lPKT0_lS6_lS5_l.num_vgpr, 36
	.set _ZN9rocsolver6v33100L22larf_left_kernel_smallILi1024EfiPKPfEEvT1_S5_T2_lS5_lPKT0_lS6_lS5_l.num_agpr, 0
	.set _ZN9rocsolver6v33100L22larf_left_kernel_smallILi1024EfiPKPfEEvT1_S5_T2_lS5_lPKT0_lS6_lS5_l.numbered_sgpr, 24
	.set _ZN9rocsolver6v33100L22larf_left_kernel_smallILi1024EfiPKPfEEvT1_S5_T2_lS5_lPKT0_lS6_lS5_l.num_named_barrier, 0
	.set _ZN9rocsolver6v33100L22larf_left_kernel_smallILi1024EfiPKPfEEvT1_S5_T2_lS5_lPKT0_lS6_lS5_l.private_seg_size, 0
	.set _ZN9rocsolver6v33100L22larf_left_kernel_smallILi1024EfiPKPfEEvT1_S5_T2_lS5_lPKT0_lS6_lS5_l.uses_vcc, 1
	.set _ZN9rocsolver6v33100L22larf_left_kernel_smallILi1024EfiPKPfEEvT1_S5_T2_lS5_lPKT0_lS6_lS5_l.uses_flat_scratch, 0
	.set _ZN9rocsolver6v33100L22larf_left_kernel_smallILi1024EfiPKPfEEvT1_S5_T2_lS5_lPKT0_lS6_lS5_l.has_dyn_sized_stack, 0
	.set _ZN9rocsolver6v33100L22larf_left_kernel_smallILi1024EfiPKPfEEvT1_S5_T2_lS5_lPKT0_lS6_lS5_l.has_recursion, 0
	.set _ZN9rocsolver6v33100L22larf_left_kernel_smallILi1024EfiPKPfEEvT1_S5_T2_lS5_lPKT0_lS6_lS5_l.has_indirect_call, 0
	.section	.AMDGPU.csdata,"",@progbits
; Kernel info:
; codeLenInByte = 1664
; TotalNumSgprs: 26
; NumVgprs: 36
; ScratchSize: 0
; MemoryBound: 0
; FloatMode: 240
; IeeeMode: 1
; LDSByteSize: 12288 bytes/workgroup (compile time only)
; SGPRBlocks: 0
; VGPRBlocks: 4
; NumSGPRsForWavesPerEU: 26
; NumVGPRsForWavesPerEU: 36
; Occupancy: 16
; WaveLimiterHint : 1
; COMPUTE_PGM_RSRC2:SCRATCH_EN: 0
; COMPUTE_PGM_RSRC2:USER_SGPR: 2
; COMPUTE_PGM_RSRC2:TRAP_HANDLER: 0
; COMPUTE_PGM_RSRC2:TGID_X_EN: 1
; COMPUTE_PGM_RSRC2:TGID_Y_EN: 1
; COMPUTE_PGM_RSRC2:TGID_Z_EN: 0
; COMPUTE_PGM_RSRC2:TIDIG_COMP_CNT: 0
	.section	.text._ZN9rocsolver6v33100L23larf_right_kernel_smallILi64EfiPKPfEEvT1_S5_T2_lS5_lPKT0_lS6_lS5_l,"axG",@progbits,_ZN9rocsolver6v33100L23larf_right_kernel_smallILi64EfiPKPfEEvT1_S5_T2_lS5_lPKT0_lS6_lS5_l,comdat
	.globl	_ZN9rocsolver6v33100L23larf_right_kernel_smallILi64EfiPKPfEEvT1_S5_T2_lS5_lPKT0_lS6_lS5_l ; -- Begin function _ZN9rocsolver6v33100L23larf_right_kernel_smallILi64EfiPKPfEEvT1_S5_T2_lS5_lPKT0_lS6_lS5_l
	.p2align	8
	.type	_ZN9rocsolver6v33100L23larf_right_kernel_smallILi64EfiPKPfEEvT1_S5_T2_lS5_lPKT0_lS6_lS5_l,@function
_ZN9rocsolver6v33100L23larf_right_kernel_smallILi64EfiPKPfEEvT1_S5_T2_lS5_lPKT0_lS6_lS5_l: ; @_ZN9rocsolver6v33100L23larf_right_kernel_smallILi64EfiPKPfEEvT1_S5_T2_lS5_lPKT0_lS6_lS5_l
; %bb.0:
	s_clause 0x1
	s_load_b256 s[4:11], s[0:1], 0x28
	s_load_b64 s[12:13], s[0:1], 0x0
	s_mov_b32 s14, ttmp9
	s_ashr_i32 s15, ttmp9, 31
	v_lshlrev_b32_e32 v3, 2, v0
	s_lshl_b64 s[18:19], s[14:15], 3
	s_wait_kmcnt 0x0
	s_add_nc_u64 s[2:3], s[8:9], s[18:19]
	s_load_b64 s[16:17], s[2:3], 0x0
	v_cmp_gt_i32_e64 s2, s13, v0
	s_and_saveexec_b32 s3, s2
	s_cbranch_execz .LBB15_3
; %bb.1:
	s_clause 0x1
	s_load_b128 s[20:23], s[0:1], 0x8
	s_load_b32 s24, s[0:1], 0x18
	v_dual_mov_b32 v5, v0 :: v_dual_lshlrev_b32 v4, 2, v0
	s_wait_kmcnt 0x0
	s_add_nc_u64 s[8:9], s[20:21], s[18:19]
	s_sub_co_i32 s18, 1, s13
	s_load_b64 s[8:9], s[8:9], 0x0
	s_lshl_b64 s[20:21], s[22:23], 2
	s_mul_i32 s18, s24, s18
	s_cmp_lt_i32 s24, 1
	s_cselect_b32 s18, s18, 0
	s_delay_alu instid0(SALU_CYCLE_1)
	v_mad_co_u64_u32 v[1:2], null, v0, s24, s[18:19]
	s_mov_b32 s18, 0
	s_lshl_b32 s19, s24, 6
	s_wait_kmcnt 0x0
	s_add_nc_u64 s[8:9], s[8:9], s[20:21]
.LBB15_2:                               ; =>This Inner Loop Header: Depth=1
	v_ashrrev_i32_e32 v2, 31, v1
	v_add_nc_u32_e32 v5, 64, v5
	s_delay_alu instid0(VALU_DEP_2) | instskip(SKIP_2) | instid1(VALU_DEP_2)
	v_lshlrev_b64_e32 v[6:7], 2, v[1:2]
	s_wait_alu 0xfffe
	v_add_nc_u32_e32 v1, s19, v1
	v_add_co_u32 v6, vcc_lo, s8, v6
	s_wait_alu 0xfffd
	s_delay_alu instid0(VALU_DEP_3)
	v_add_co_ci_u32_e64 v7, null, s9, v7, vcc_lo
	v_cmp_le_i32_e32 vcc_lo, s13, v5
	flat_load_b32 v2, v[6:7]
	s_or_b32 s18, vcc_lo, s18
	s_wait_loadcnt_dscnt 0x0
	ds_store_b32 v4, v2
	v_add_nc_u32_e32 v4, 0x100, v4
	s_wait_alu 0xfffe
	s_and_not1_b32 exec_lo, exec_lo, s18
	s_cbranch_execnz .LBB15_2
.LBB15_3:
	s_or_b32 exec_lo, exec_lo, s3
	s_cmp_ge_i32 ttmp7, s12
	s_wait_dscnt 0x0
	s_barrier_signal -1
	s_barrier_wait -1
	global_inv scope:SCOPE_SE
	s_cbranch_scc1 .LBB15_23
; %bb.4:
	s_load_b32 s9, s[0:1], 0x48
	v_dual_mov_b32 v8, 0 :: v_dual_and_b32 v1, 31, v0
	v_mbcnt_lo_u32_b32 v4, -1, 0
	s_lshl_b64 s[0:1], s[10:11], 2
	s_mul_u64 s[10:11], s[6:7], s[14:15]
	s_wait_kmcnt 0x0
	s_add_nc_u64 s[6:7], s[16:17], s[0:1]
	s_lshl_b64 s[10:11], s[10:11], 2
	v_cmp_eq_u32_e64 s0, 0, v1
	v_lshrrev_b32_e32 v5, 3, v0
	v_cmp_eq_u32_e64 s1, 0, v0
	v_lshl_or_b32 v7, v4, 2, 64
	s_cmp_gt_i32 s13, 1
	s_mov_b32 s8, ttmp7
	s_add_nc_u64 s[4:5], s[4:5], s[10:11]
	s_cselect_b32 s3, -1, 0
	v_mul_lo_u32 v6, v0, s9
	s_lshl_b32 s14, s9, 6
	s_branch .LBB15_6
.LBB15_5:                               ;   in Loop: Header=BB15_6 Depth=1
	s_wait_alu 0xfffe
	s_or_b32 exec_lo, exec_lo, s9
	s_add_co_i32 s8, s8, 64
	s_wait_alu 0xfffe
	s_cmp_ge_i32 s8, s12
	s_cbranch_scc1 .LBB15_23
.LBB15_6:                               ; =>This Loop Header: Depth=1
                                        ;     Child Loop BB15_8 Depth 2
                                        ;     Child Loop BB15_22 Depth 2
	s_wait_alu 0xfffe
	s_ashr_i32 s9, s8, 31
	v_mov_b32_e32 v9, 0
	s_wait_alu 0xfffe
	s_lshl_b64 s[10:11], s[8:9], 2
	s_wait_alu 0xfffe
	s_add_nc_u64 s[10:11], s[6:7], s[10:11]
	s_and_saveexec_b32 s9, s2
	s_cbranch_execz .LBB15_10
; %bb.7:                                ;   in Loop: Header=BB15_6 Depth=1
	v_dual_mov_b32 v9, 0 :: v_dual_mov_b32 v10, v3
	v_mov_b32_e32 v1, v6
	v_mov_b32_e32 v11, v0
	s_mov_b32 s15, 0
.LBB15_8:                               ;   Parent Loop BB15_6 Depth=1
                                        ; =>  This Inner Loop Header: Depth=2
	s_delay_alu instid0(VALU_DEP_2) | instskip(NEXT) | instid1(VALU_DEP_2)
	v_ashrrev_i32_e32 v2, 31, v1
	v_add_nc_u32_e32 v11, 64, v11
	s_delay_alu instid0(VALU_DEP_2) | instskip(SKIP_2) | instid1(VALU_DEP_2)
	v_lshlrev_b64_e32 v[12:13], 2, v[1:2]
	v_add_nc_u32_e32 v1, s14, v1
	s_wait_alu 0xfffe
	v_add_co_u32 v12, vcc_lo, s10, v12
	s_wait_alu 0xfffd
	s_delay_alu instid0(VALU_DEP_3)
	v_add_co_ci_u32_e64 v13, null, s11, v13, vcc_lo
	v_cmp_le_i32_e32 vcc_lo, s13, v11
	flat_load_b32 v2, v[12:13]
	ds_load_b32 v12, v10
	v_add_nc_u32_e32 v10, 0x100, v10
	s_or_b32 s15, vcc_lo, s15
	s_wait_loadcnt_dscnt 0x0
	v_fmac_f32_e32 v9, v12, v2
	s_wait_alu 0xfffe
	s_and_not1_b32 exec_lo, exec_lo, s15
	s_cbranch_execnz .LBB15_8
; %bb.9:                                ;   in Loop: Header=BB15_6 Depth=1
	s_or_b32 exec_lo, exec_lo, s15
.LBB15_10:                              ;   in Loop: Header=BB15_6 Depth=1
	s_wait_alu 0xfffe
	s_or_b32 exec_lo, exec_lo, s9
	s_delay_alu instid0(SALU_CYCLE_1)
	s_and_b32 vcc_lo, exec_lo, s3
	s_wait_alu 0xfffe
	s_cbranch_vccz .LBB15_17
; %bb.11:                               ;   in Loop: Header=BB15_6 Depth=1
	v_cmp_ne_u32_e32 vcc_lo, 31, v4
	s_wait_alu 0xfffd
	v_add_co_ci_u32_e64 v1, null, 0, v4, vcc_lo
	v_cmp_gt_u32_e32 vcc_lo, 30, v4
	s_delay_alu instid0(VALU_DEP_2)
	v_lshlrev_b32_e32 v1, 2, v1
	s_wait_alu 0xfffd
	v_cndmask_b32_e64 v2, 0, 2, vcc_lo
	v_cmp_gt_u32_e32 vcc_lo, 28, v4
	ds_bpermute_b32 v1, v1, v9
	v_add_lshl_u32 v2, v2, v4, 2
	s_wait_alu 0xfffd
	v_cndmask_b32_e64 v10, 0, 4, vcc_lo
	v_cmp_gt_u32_e32 vcc_lo, 24, v4
	s_delay_alu instid0(VALU_DEP_2)
	v_add_lshl_u32 v10, v10, v4, 2
	s_wait_dscnt 0x0
	v_add_f32_e32 v1, v9, v1
	ds_bpermute_b32 v2, v2, v1
	s_wait_dscnt 0x0
	v_add_f32_e32 v1, v1, v2
	ds_bpermute_b32 v2, v10, v1
	s_wait_alu 0xfffd
	v_cndmask_b32_e64 v10, 0, 8, vcc_lo
	s_wait_dscnt 0x0
	v_add_f32_e32 v1, v1, v2
	s_delay_alu instid0(VALU_DEP_2)
	v_add_lshl_u32 v2, v10, v4, 2
	ds_bpermute_b32 v2, v2, v1
	s_wait_dscnt 0x0
	v_add_f32_e32 v1, v1, v2
	ds_bpermute_b32 v2, v7, v1
	s_wait_dscnt 0x0
	v_add_f32_e32 v2, v1, v2
	s_and_saveexec_b32 s9, s0
; %bb.12:                               ;   in Loop: Header=BB15_6 Depth=1
	ds_store_b32 v5, v2 offset:8192
; %bb.13:                               ;   in Loop: Header=BB15_6 Depth=1
	s_wait_alu 0xfffe
	s_or_b32 exec_lo, exec_lo, s9
	s_mov_b32 s15, 0
	s_mov_b32 s9, 0
	s_wait_loadcnt_dscnt 0x0
	s_barrier_signal -1
	s_barrier_wait -1
	global_inv scope:SCOPE_SE
                                        ; implicit-def: $vgpr1
	s_and_saveexec_b32 s16, s1
	s_delay_alu instid0(SALU_CYCLE_1)
	s_xor_b32 s16, exec_lo, s16
	s_cbranch_execz .LBB15_15
; %bb.14:                               ;   in Loop: Header=BB15_6 Depth=1
	ds_load_b32 v1, v8 offset:8196
	s_mov_b32 s9, exec_lo
	s_wait_dscnt 0x0
	v_add_f32_e32 v1, v2, v1
.LBB15_15:                              ;   in Loop: Header=BB15_6 Depth=1
	s_or_b32 exec_lo, exec_lo, s16
	s_wait_alu 0xfffe
	s_and_b32 vcc_lo, exec_lo, s15
	s_wait_alu 0xfffe
	s_cbranch_vccnz .LBB15_18
.LBB15_16:                              ;   in Loop: Header=BB15_6 Depth=1
	v_mov_b32_e32 v9, v1
	s_wait_alu 0xfffe
	s_and_saveexec_b32 s15, s9
	s_cbranch_execnz .LBB15_19
	s_branch .LBB15_20
.LBB15_17:                              ;   in Loop: Header=BB15_6 Depth=1
	s_mov_b32 s9, 0
                                        ; implicit-def: $vgpr1
	s_cbranch_execz .LBB15_16
.LBB15_18:                              ;   in Loop: Header=BB15_6 Depth=1
	s_wait_alu 0xfffe
	s_and_not1_b32 s9, s9, exec_lo
	s_and_b32 s15, s1, exec_lo
	s_wait_alu 0xfffe
	s_or_b32 s9, s9, s15
	s_wait_alu 0xfffe
	s_and_saveexec_b32 s15, s9
.LBB15_19:                              ;   in Loop: Header=BB15_6 Depth=1
	ds_store_b32 v8, v9 offset:8192
.LBB15_20:                              ;   in Loop: Header=BB15_6 Depth=1
	s_wait_alu 0xfffe
	s_or_b32 exec_lo, exec_lo, s15
	s_wait_loadcnt_dscnt 0x0
	s_barrier_signal -1
	s_barrier_wait -1
	global_inv scope:SCOPE_SE
	s_and_saveexec_b32 s9, s2
	s_cbranch_execz .LBB15_5
; %bb.21:                               ;   in Loop: Header=BB15_6 Depth=1
	global_load_b32 v1, v8, s[4:5]
	ds_load_b32 v2, v8 offset:8192
	v_mov_b32_e32 v11, v0
	s_mov_b32 s15, 0
	s_wait_loadcnt 0x0
	v_xor_b32_e32 v10, 0x80000000, v1
	v_mov_b32_e32 v9, v3
	v_mov_b32_e32 v1, v6
	s_wait_dscnt 0x0
	s_delay_alu instid0(VALU_DEP_3)
	v_mul_f32_e32 v10, v2, v10
.LBB15_22:                              ;   Parent Loop BB15_6 Depth=1
                                        ; =>  This Inner Loop Header: Depth=2
	s_delay_alu instid0(VALU_DEP_2) | instskip(SKIP_4) | instid1(VALU_DEP_2)
	v_ashrrev_i32_e32 v2, 31, v1
	ds_load_b32 v14, v9
	v_add_nc_u32_e32 v9, 0x100, v9
	v_lshlrev_b64_e32 v[12:13], 2, v[1:2]
	v_add_nc_u32_e32 v1, s14, v1
	v_add_co_u32 v12, vcc_lo, s10, v12
	s_wait_alu 0xfffd
	s_delay_alu instid0(VALU_DEP_3) | instskip(SKIP_3) | instid1(VALU_DEP_1)
	v_add_co_ci_u32_e64 v13, null, s11, v13, vcc_lo
	flat_load_b32 v2, v[12:13]
	s_wait_loadcnt_dscnt 0x0
	v_dual_fmac_f32 v2, v10, v14 :: v_dual_add_nc_u32 v11, 64, v11
	v_cmp_le_i32_e32 vcc_lo, s13, v11
	flat_store_b32 v[12:13], v2
	s_wait_alu 0xfffe
	s_or_b32 s15, vcc_lo, s15
	s_wait_alu 0xfffe
	s_and_not1_b32 exec_lo, exec_lo, s15
	s_cbranch_execnz .LBB15_22
	s_branch .LBB15_5
.LBB15_23:
	s_endpgm
	.section	.rodata,"a",@progbits
	.p2align	6, 0x0
	.amdhsa_kernel _ZN9rocsolver6v33100L23larf_right_kernel_smallILi64EfiPKPfEEvT1_S5_T2_lS5_lPKT0_lS6_lS5_l
		.amdhsa_group_segment_fixed_size 8200
		.amdhsa_private_segment_fixed_size 0
		.amdhsa_kernarg_size 88
		.amdhsa_user_sgpr_count 2
		.amdhsa_user_sgpr_dispatch_ptr 0
		.amdhsa_user_sgpr_queue_ptr 0
		.amdhsa_user_sgpr_kernarg_segment_ptr 1
		.amdhsa_user_sgpr_dispatch_id 0
		.amdhsa_user_sgpr_private_segment_size 0
		.amdhsa_wavefront_size32 1
		.amdhsa_uses_dynamic_stack 0
		.amdhsa_enable_private_segment 0
		.amdhsa_system_sgpr_workgroup_id_x 1
		.amdhsa_system_sgpr_workgroup_id_y 1
		.amdhsa_system_sgpr_workgroup_id_z 0
		.amdhsa_system_sgpr_workgroup_info 0
		.amdhsa_system_vgpr_workitem_id 0
		.amdhsa_next_free_vgpr 169
		.amdhsa_next_free_sgpr 25
		.amdhsa_reserve_vcc 1
		.amdhsa_float_round_mode_32 0
		.amdhsa_float_round_mode_16_64 0
		.amdhsa_float_denorm_mode_32 3
		.amdhsa_float_denorm_mode_16_64 3
		.amdhsa_fp16_overflow 0
		.amdhsa_workgroup_processor_mode 1
		.amdhsa_memory_ordered 1
		.amdhsa_forward_progress 1
		.amdhsa_inst_pref_size 10
		.amdhsa_round_robin_scheduling 0
		.amdhsa_exception_fp_ieee_invalid_op 0
		.amdhsa_exception_fp_denorm_src 0
		.amdhsa_exception_fp_ieee_div_zero 0
		.amdhsa_exception_fp_ieee_overflow 0
		.amdhsa_exception_fp_ieee_underflow 0
		.amdhsa_exception_fp_ieee_inexact 0
		.amdhsa_exception_int_div_zero 0
	.end_amdhsa_kernel
	.section	.text._ZN9rocsolver6v33100L23larf_right_kernel_smallILi64EfiPKPfEEvT1_S5_T2_lS5_lPKT0_lS6_lS5_l,"axG",@progbits,_ZN9rocsolver6v33100L23larf_right_kernel_smallILi64EfiPKPfEEvT1_S5_T2_lS5_lPKT0_lS6_lS5_l,comdat
.Lfunc_end15:
	.size	_ZN9rocsolver6v33100L23larf_right_kernel_smallILi64EfiPKPfEEvT1_S5_T2_lS5_lPKT0_lS6_lS5_l, .Lfunc_end15-_ZN9rocsolver6v33100L23larf_right_kernel_smallILi64EfiPKPfEEvT1_S5_T2_lS5_lPKT0_lS6_lS5_l
                                        ; -- End function
	.set _ZN9rocsolver6v33100L23larf_right_kernel_smallILi64EfiPKPfEEvT1_S5_T2_lS5_lPKT0_lS6_lS5_l.num_vgpr, 15
	.set _ZN9rocsolver6v33100L23larf_right_kernel_smallILi64EfiPKPfEEvT1_S5_T2_lS5_lPKT0_lS6_lS5_l.num_agpr, 0
	.set _ZN9rocsolver6v33100L23larf_right_kernel_smallILi64EfiPKPfEEvT1_S5_T2_lS5_lPKT0_lS6_lS5_l.numbered_sgpr, 25
	.set _ZN9rocsolver6v33100L23larf_right_kernel_smallILi64EfiPKPfEEvT1_S5_T2_lS5_lPKT0_lS6_lS5_l.num_named_barrier, 0
	.set _ZN9rocsolver6v33100L23larf_right_kernel_smallILi64EfiPKPfEEvT1_S5_T2_lS5_lPKT0_lS6_lS5_l.private_seg_size, 0
	.set _ZN9rocsolver6v33100L23larf_right_kernel_smallILi64EfiPKPfEEvT1_S5_T2_lS5_lPKT0_lS6_lS5_l.uses_vcc, 1
	.set _ZN9rocsolver6v33100L23larf_right_kernel_smallILi64EfiPKPfEEvT1_S5_T2_lS5_lPKT0_lS6_lS5_l.uses_flat_scratch, 0
	.set _ZN9rocsolver6v33100L23larf_right_kernel_smallILi64EfiPKPfEEvT1_S5_T2_lS5_lPKT0_lS6_lS5_l.has_dyn_sized_stack, 0
	.set _ZN9rocsolver6v33100L23larf_right_kernel_smallILi64EfiPKPfEEvT1_S5_T2_lS5_lPKT0_lS6_lS5_l.has_recursion, 0
	.set _ZN9rocsolver6v33100L23larf_right_kernel_smallILi64EfiPKPfEEvT1_S5_T2_lS5_lPKT0_lS6_lS5_l.has_indirect_call, 0
	.section	.AMDGPU.csdata,"",@progbits
; Kernel info:
; codeLenInByte = 1196
; TotalNumSgprs: 27
; NumVgprs: 15
; ScratchSize: 0
; MemoryBound: 0
; FloatMode: 240
; IeeeMode: 1
; LDSByteSize: 8200 bytes/workgroup (compile time only)
; SGPRBlocks: 0
; VGPRBlocks: 21
; NumSGPRsForWavesPerEU: 27
; NumVGPRsForWavesPerEU: 169
; Occupancy: 8
; WaveLimiterHint : 1
; COMPUTE_PGM_RSRC2:SCRATCH_EN: 0
; COMPUTE_PGM_RSRC2:USER_SGPR: 2
; COMPUTE_PGM_RSRC2:TRAP_HANDLER: 0
; COMPUTE_PGM_RSRC2:TGID_X_EN: 1
; COMPUTE_PGM_RSRC2:TGID_Y_EN: 1
; COMPUTE_PGM_RSRC2:TGID_Z_EN: 0
; COMPUTE_PGM_RSRC2:TIDIG_COMP_CNT: 0
	.section	.text._ZN9rocsolver6v33100L23larf_right_kernel_smallILi128EfiPKPfEEvT1_S5_T2_lS5_lPKT0_lS6_lS5_l,"axG",@progbits,_ZN9rocsolver6v33100L23larf_right_kernel_smallILi128EfiPKPfEEvT1_S5_T2_lS5_lPKT0_lS6_lS5_l,comdat
	.globl	_ZN9rocsolver6v33100L23larf_right_kernel_smallILi128EfiPKPfEEvT1_S5_T2_lS5_lPKT0_lS6_lS5_l ; -- Begin function _ZN9rocsolver6v33100L23larf_right_kernel_smallILi128EfiPKPfEEvT1_S5_T2_lS5_lPKT0_lS6_lS5_l
	.p2align	8
	.type	_ZN9rocsolver6v33100L23larf_right_kernel_smallILi128EfiPKPfEEvT1_S5_T2_lS5_lPKT0_lS6_lS5_l,@function
_ZN9rocsolver6v33100L23larf_right_kernel_smallILi128EfiPKPfEEvT1_S5_T2_lS5_lPKT0_lS6_lS5_l: ; @_ZN9rocsolver6v33100L23larf_right_kernel_smallILi128EfiPKPfEEvT1_S5_T2_lS5_lPKT0_lS6_lS5_l
; %bb.0:
	s_clause 0x1
	s_load_b256 s[4:11], s[0:1], 0x28
	s_load_b64 s[12:13], s[0:1], 0x0
	s_mov_b32 s14, ttmp9
	s_ashr_i32 s15, ttmp9, 31
	v_lshlrev_b32_e32 v3, 2, v0
	s_lshl_b64 s[18:19], s[14:15], 3
	s_wait_kmcnt 0x0
	s_add_nc_u64 s[2:3], s[8:9], s[18:19]
	s_load_b64 s[16:17], s[2:3], 0x0
	v_cmp_gt_i32_e64 s2, s13, v0
	s_and_saveexec_b32 s3, s2
	s_cbranch_execz .LBB16_3
; %bb.1:
	s_clause 0x1
	s_load_b128 s[20:23], s[0:1], 0x8
	s_load_b32 s24, s[0:1], 0x18
	v_dual_mov_b32 v5, v0 :: v_dual_lshlrev_b32 v4, 2, v0
	s_wait_kmcnt 0x0
	s_add_nc_u64 s[8:9], s[20:21], s[18:19]
	s_sub_co_i32 s18, 1, s13
	s_load_b64 s[8:9], s[8:9], 0x0
	s_lshl_b64 s[20:21], s[22:23], 2
	s_mul_i32 s18, s24, s18
	s_cmp_lt_i32 s24, 1
	s_cselect_b32 s18, s18, 0
	s_delay_alu instid0(SALU_CYCLE_1)
	v_mad_co_u64_u32 v[1:2], null, v0, s24, s[18:19]
	s_mov_b32 s18, 0
	s_lshl_b32 s19, s24, 7
	s_wait_kmcnt 0x0
	s_add_nc_u64 s[8:9], s[8:9], s[20:21]
.LBB16_2:                               ; =>This Inner Loop Header: Depth=1
	v_ashrrev_i32_e32 v2, 31, v1
	v_add_nc_u32_e32 v5, 0x80, v5
	s_delay_alu instid0(VALU_DEP_2) | instskip(SKIP_2) | instid1(VALU_DEP_2)
	v_lshlrev_b64_e32 v[6:7], 2, v[1:2]
	s_wait_alu 0xfffe
	v_add_nc_u32_e32 v1, s19, v1
	v_add_co_u32 v6, vcc_lo, s8, v6
	s_wait_alu 0xfffd
	s_delay_alu instid0(VALU_DEP_3)
	v_add_co_ci_u32_e64 v7, null, s9, v7, vcc_lo
	v_cmp_le_i32_e32 vcc_lo, s13, v5
	flat_load_b32 v2, v[6:7]
	s_or_b32 s18, vcc_lo, s18
	s_wait_loadcnt_dscnt 0x0
	ds_store_b32 v4, v2
	v_add_nc_u32_e32 v4, 0x200, v4
	s_wait_alu 0xfffe
	s_and_not1_b32 exec_lo, exec_lo, s18
	s_cbranch_execnz .LBB16_2
.LBB16_3:
	s_or_b32 exec_lo, exec_lo, s3
	s_cmp_ge_i32 ttmp7, s12
	s_wait_dscnt 0x0
	s_barrier_signal -1
	s_barrier_wait -1
	global_inv scope:SCOPE_SE
	s_cbranch_scc1 .LBB16_23
; %bb.4:
	s_load_b32 s9, s[0:1], 0x48
	v_dual_mov_b32 v8, 0x2004 :: v_dual_and_b32 v1, 31, v0
	v_mbcnt_lo_u32_b32 v4, -1, 0
	s_lshl_b64 s[0:1], s[10:11], 2
	s_mul_u64 s[10:11], s[6:7], s[14:15]
	s_wait_kmcnt 0x0
	s_add_nc_u64 s[6:7], s[16:17], s[0:1]
	s_lshl_b64 s[10:11], s[10:11], 2
	v_cmp_eq_u32_e64 s0, 0, v1
	v_lshrrev_b32_e32 v5, 3, v0
	v_cmp_eq_u32_e64 s1, 0, v0
	v_lshl_or_b32 v7, v4, 2, 64
	v_mov_b32_e32 v9, 0
	s_cmp_gt_i32 s13, 1
	s_mov_b32 s8, ttmp7
	s_add_nc_u64 s[4:5], s[4:5], s[10:11]
	s_cselect_b32 s3, -1, 0
	v_mul_lo_u32 v6, v0, s9
	s_lshl_b32 s14, s9, 7
	s_branch .LBB16_6
.LBB16_5:                               ;   in Loop: Header=BB16_6 Depth=1
	s_wait_alu 0xfffe
	s_or_b32 exec_lo, exec_lo, s9
	s_add_co_i32 s8, s8, 64
	s_wait_alu 0xfffe
	s_cmp_ge_i32 s8, s12
	s_cbranch_scc1 .LBB16_23
.LBB16_6:                               ; =>This Loop Header: Depth=1
                                        ;     Child Loop BB16_8 Depth 2
                                        ;     Child Loop BB16_22 Depth 2
	s_wait_alu 0xfffe
	s_ashr_i32 s9, s8, 31
	v_mov_b32_e32 v10, 0
	s_wait_alu 0xfffe
	s_lshl_b64 s[10:11], s[8:9], 2
	s_wait_alu 0xfffe
	s_add_nc_u64 s[10:11], s[6:7], s[10:11]
	s_and_saveexec_b32 s9, s2
	s_cbranch_execz .LBB16_10
; %bb.7:                                ;   in Loop: Header=BB16_6 Depth=1
	v_dual_mov_b32 v10, 0 :: v_dual_mov_b32 v1, v6
	v_dual_mov_b32 v11, v3 :: v_dual_mov_b32 v12, v0
	s_mov_b32 s15, 0
.LBB16_8:                               ;   Parent Loop BB16_6 Depth=1
                                        ; =>  This Inner Loop Header: Depth=2
	s_delay_alu instid0(VALU_DEP_2) | instskip(NEXT) | instid1(VALU_DEP_2)
	v_ashrrev_i32_e32 v2, 31, v1
	v_add_nc_u32_e32 v12, 0x80, v12
	s_delay_alu instid0(VALU_DEP_2) | instskip(SKIP_2) | instid1(VALU_DEP_2)
	v_lshlrev_b64_e32 v[13:14], 2, v[1:2]
	v_add_nc_u32_e32 v1, s14, v1
	s_wait_alu 0xfffe
	v_add_co_u32 v13, vcc_lo, s10, v13
	s_wait_alu 0xfffd
	s_delay_alu instid0(VALU_DEP_3)
	v_add_co_ci_u32_e64 v14, null, s11, v14, vcc_lo
	v_cmp_le_i32_e32 vcc_lo, s13, v12
	flat_load_b32 v2, v[13:14]
	ds_load_b32 v13, v11
	v_add_nc_u32_e32 v11, 0x200, v11
	s_or_b32 s15, vcc_lo, s15
	s_wait_loadcnt_dscnt 0x0
	v_fmac_f32_e32 v10, v13, v2
	s_wait_alu 0xfffe
	s_and_not1_b32 exec_lo, exec_lo, s15
	s_cbranch_execnz .LBB16_8
; %bb.9:                                ;   in Loop: Header=BB16_6 Depth=1
	s_or_b32 exec_lo, exec_lo, s15
.LBB16_10:                              ;   in Loop: Header=BB16_6 Depth=1
	s_wait_alu 0xfffe
	s_or_b32 exec_lo, exec_lo, s9
	s_delay_alu instid0(SALU_CYCLE_1)
	s_and_b32 vcc_lo, exec_lo, s3
	s_wait_alu 0xfffe
	s_cbranch_vccz .LBB16_17
; %bb.11:                               ;   in Loop: Header=BB16_6 Depth=1
	v_cmp_ne_u32_e32 vcc_lo, 31, v4
	s_wait_alu 0xfffd
	v_add_co_ci_u32_e64 v1, null, 0, v4, vcc_lo
	v_cmp_gt_u32_e32 vcc_lo, 30, v4
	s_delay_alu instid0(VALU_DEP_2)
	v_lshlrev_b32_e32 v1, 2, v1
	s_wait_alu 0xfffd
	v_cndmask_b32_e64 v2, 0, 2, vcc_lo
	v_cmp_gt_u32_e32 vcc_lo, 28, v4
	ds_bpermute_b32 v1, v1, v10
	v_add_lshl_u32 v2, v2, v4, 2
	s_wait_alu 0xfffd
	v_cndmask_b32_e64 v11, 0, 4, vcc_lo
	v_cmp_gt_u32_e32 vcc_lo, 24, v4
	s_delay_alu instid0(VALU_DEP_2)
	v_add_lshl_u32 v11, v11, v4, 2
	s_wait_dscnt 0x0
	v_add_f32_e32 v1, v10, v1
	ds_bpermute_b32 v2, v2, v1
	s_wait_dscnt 0x0
	v_add_f32_e32 v1, v1, v2
	ds_bpermute_b32 v2, v11, v1
	s_wait_alu 0xfffd
	v_cndmask_b32_e64 v11, 0, 8, vcc_lo
	s_wait_dscnt 0x0
	v_add_f32_e32 v1, v1, v2
	s_delay_alu instid0(VALU_DEP_2)
	v_add_lshl_u32 v2, v11, v4, 2
	ds_bpermute_b32 v2, v2, v1
	s_wait_dscnt 0x0
	v_add_f32_e32 v1, v1, v2
	ds_bpermute_b32 v2, v7, v1
	s_wait_dscnt 0x0
	v_add_f32_e32 v2, v1, v2
	s_and_saveexec_b32 s9, s0
; %bb.12:                               ;   in Loop: Header=BB16_6 Depth=1
	ds_store_b32 v5, v2 offset:8192
; %bb.13:                               ;   in Loop: Header=BB16_6 Depth=1
	s_wait_alu 0xfffe
	s_or_b32 exec_lo, exec_lo, s9
	s_mov_b32 s15, 0
	s_mov_b32 s9, 0
	s_wait_loadcnt_dscnt 0x0
	s_barrier_signal -1
	s_barrier_wait -1
	global_inv scope:SCOPE_SE
                                        ; implicit-def: $vgpr1
	s_and_saveexec_b32 s16, s1
	s_delay_alu instid0(SALU_CYCLE_1)
	s_xor_b32 s16, exec_lo, s16
	s_cbranch_execz .LBB16_15
; %bb.14:                               ;   in Loop: Header=BB16_6 Depth=1
	ds_load_2addr_b32 v[11:12], v8 offset1:1
	ds_load_b32 v1, v9 offset:8204
	s_mov_b32 s9, exec_lo
	s_wait_dscnt 0x1
	v_add_f32_e32 v2, v2, v11
	s_delay_alu instid0(VALU_DEP_1) | instskip(SKIP_1) | instid1(VALU_DEP_1)
	v_add_f32_e32 v2, v2, v12
	s_wait_dscnt 0x0
	v_add_f32_e32 v1, v2, v1
.LBB16_15:                              ;   in Loop: Header=BB16_6 Depth=1
	s_or_b32 exec_lo, exec_lo, s16
	s_wait_alu 0xfffe
	s_and_b32 vcc_lo, exec_lo, s15
	s_wait_alu 0xfffe
	s_cbranch_vccnz .LBB16_18
.LBB16_16:                              ;   in Loop: Header=BB16_6 Depth=1
	v_mov_b32_e32 v10, v1
	s_wait_alu 0xfffe
	s_and_saveexec_b32 s15, s9
	s_cbranch_execnz .LBB16_19
	s_branch .LBB16_20
.LBB16_17:                              ;   in Loop: Header=BB16_6 Depth=1
	s_mov_b32 s9, 0
                                        ; implicit-def: $vgpr1
	s_cbranch_execz .LBB16_16
.LBB16_18:                              ;   in Loop: Header=BB16_6 Depth=1
	s_wait_alu 0xfffe
	s_and_not1_b32 s9, s9, exec_lo
	s_and_b32 s15, s1, exec_lo
	s_wait_alu 0xfffe
	s_or_b32 s9, s9, s15
	s_wait_alu 0xfffe
	s_and_saveexec_b32 s15, s9
.LBB16_19:                              ;   in Loop: Header=BB16_6 Depth=1
	ds_store_b32 v9, v10 offset:8192
.LBB16_20:                              ;   in Loop: Header=BB16_6 Depth=1
	s_wait_alu 0xfffe
	s_or_b32 exec_lo, exec_lo, s15
	s_wait_loadcnt_dscnt 0x0
	s_barrier_signal -1
	s_barrier_wait -1
	global_inv scope:SCOPE_SE
	s_and_saveexec_b32 s9, s2
	s_cbranch_execz .LBB16_5
; %bb.21:                               ;   in Loop: Header=BB16_6 Depth=1
	global_load_b32 v1, v9, s[4:5]
	ds_load_b32 v2, v9 offset:8192
	v_mov_b32_e32 v10, v3
	s_mov_b32 s15, 0
	v_mov_b32_e32 v12, v0
	s_wait_loadcnt 0x0
	v_xor_b32_e32 v11, 0x80000000, v1
	v_mov_b32_e32 v1, v6
	s_wait_dscnt 0x0
	s_delay_alu instid0(VALU_DEP_2)
	v_mul_f32_e32 v11, v2, v11
.LBB16_22:                              ;   Parent Loop BB16_6 Depth=1
                                        ; =>  This Inner Loop Header: Depth=2
	s_delay_alu instid0(VALU_DEP_2)
	v_ashrrev_i32_e32 v2, 31, v1
	ds_load_b32 v15, v10
	v_add_nc_u32_e32 v12, 0x80, v12
	v_add_nc_u32_e32 v10, 0x200, v10
	v_lshlrev_b64_e32 v[13:14], 2, v[1:2]
	v_add_nc_u32_e32 v1, s14, v1
	s_delay_alu instid0(VALU_DEP_2) | instskip(SKIP_1) | instid1(VALU_DEP_3)
	v_add_co_u32 v13, vcc_lo, s10, v13
	s_wait_alu 0xfffd
	v_add_co_ci_u32_e64 v14, null, s11, v14, vcc_lo
	v_cmp_le_i32_e32 vcc_lo, s13, v12
	flat_load_b32 v2, v[13:14]
	s_wait_alu 0xfffe
	s_or_b32 s15, vcc_lo, s15
	s_wait_loadcnt_dscnt 0x0
	v_fmac_f32_e32 v2, v11, v15
	flat_store_b32 v[13:14], v2
	s_wait_alu 0xfffe
	s_and_not1_b32 exec_lo, exec_lo, s15
	s_cbranch_execnz .LBB16_22
	s_branch .LBB16_5
.LBB16_23:
	s_endpgm
	.section	.rodata,"a",@progbits
	.p2align	6, 0x0
	.amdhsa_kernel _ZN9rocsolver6v33100L23larf_right_kernel_smallILi128EfiPKPfEEvT1_S5_T2_lS5_lPKT0_lS6_lS5_l
		.amdhsa_group_segment_fixed_size 8208
		.amdhsa_private_segment_fixed_size 0
		.amdhsa_kernarg_size 88
		.amdhsa_user_sgpr_count 2
		.amdhsa_user_sgpr_dispatch_ptr 0
		.amdhsa_user_sgpr_queue_ptr 0
		.amdhsa_user_sgpr_kernarg_segment_ptr 1
		.amdhsa_user_sgpr_dispatch_id 0
		.amdhsa_user_sgpr_private_segment_size 0
		.amdhsa_wavefront_size32 1
		.amdhsa_uses_dynamic_stack 0
		.amdhsa_enable_private_segment 0
		.amdhsa_system_sgpr_workgroup_id_x 1
		.amdhsa_system_sgpr_workgroup_id_y 1
		.amdhsa_system_sgpr_workgroup_id_z 0
		.amdhsa_system_sgpr_workgroup_info 0
		.amdhsa_system_vgpr_workitem_id 0
		.amdhsa_next_free_vgpr 16
		.amdhsa_next_free_sgpr 25
		.amdhsa_reserve_vcc 1
		.amdhsa_float_round_mode_32 0
		.amdhsa_float_round_mode_16_64 0
		.amdhsa_float_denorm_mode_32 3
		.amdhsa_float_denorm_mode_16_64 3
		.amdhsa_fp16_overflow 0
		.amdhsa_workgroup_processor_mode 1
		.amdhsa_memory_ordered 1
		.amdhsa_forward_progress 1
		.amdhsa_inst_pref_size 10
		.amdhsa_round_robin_scheduling 0
		.amdhsa_exception_fp_ieee_invalid_op 0
		.amdhsa_exception_fp_denorm_src 0
		.amdhsa_exception_fp_ieee_div_zero 0
		.amdhsa_exception_fp_ieee_overflow 0
		.amdhsa_exception_fp_ieee_underflow 0
		.amdhsa_exception_fp_ieee_inexact 0
		.amdhsa_exception_int_div_zero 0
	.end_amdhsa_kernel
	.section	.text._ZN9rocsolver6v33100L23larf_right_kernel_smallILi128EfiPKPfEEvT1_S5_T2_lS5_lPKT0_lS6_lS5_l,"axG",@progbits,_ZN9rocsolver6v33100L23larf_right_kernel_smallILi128EfiPKPfEEvT1_S5_T2_lS5_lPKT0_lS6_lS5_l,comdat
.Lfunc_end16:
	.size	_ZN9rocsolver6v33100L23larf_right_kernel_smallILi128EfiPKPfEEvT1_S5_T2_lS5_lPKT0_lS6_lS5_l, .Lfunc_end16-_ZN9rocsolver6v33100L23larf_right_kernel_smallILi128EfiPKPfEEvT1_S5_T2_lS5_lPKT0_lS6_lS5_l
                                        ; -- End function
	.set _ZN9rocsolver6v33100L23larf_right_kernel_smallILi128EfiPKPfEEvT1_S5_T2_lS5_lPKT0_lS6_lS5_l.num_vgpr, 16
	.set _ZN9rocsolver6v33100L23larf_right_kernel_smallILi128EfiPKPfEEvT1_S5_T2_lS5_lPKT0_lS6_lS5_l.num_agpr, 0
	.set _ZN9rocsolver6v33100L23larf_right_kernel_smallILi128EfiPKPfEEvT1_S5_T2_lS5_lPKT0_lS6_lS5_l.numbered_sgpr, 25
	.set _ZN9rocsolver6v33100L23larf_right_kernel_smallILi128EfiPKPfEEvT1_S5_T2_lS5_lPKT0_lS6_lS5_l.num_named_barrier, 0
	.set _ZN9rocsolver6v33100L23larf_right_kernel_smallILi128EfiPKPfEEvT1_S5_T2_lS5_lPKT0_lS6_lS5_l.private_seg_size, 0
	.set _ZN9rocsolver6v33100L23larf_right_kernel_smallILi128EfiPKPfEEvT1_S5_T2_lS5_lPKT0_lS6_lS5_l.uses_vcc, 1
	.set _ZN9rocsolver6v33100L23larf_right_kernel_smallILi128EfiPKPfEEvT1_S5_T2_lS5_lPKT0_lS6_lS5_l.uses_flat_scratch, 0
	.set _ZN9rocsolver6v33100L23larf_right_kernel_smallILi128EfiPKPfEEvT1_S5_T2_lS5_lPKT0_lS6_lS5_l.has_dyn_sized_stack, 0
	.set _ZN9rocsolver6v33100L23larf_right_kernel_smallILi128EfiPKPfEEvT1_S5_T2_lS5_lPKT0_lS6_lS5_l.has_recursion, 0
	.set _ZN9rocsolver6v33100L23larf_right_kernel_smallILi128EfiPKPfEEvT1_S5_T2_lS5_lPKT0_lS6_lS5_l.has_indirect_call, 0
	.section	.AMDGPU.csdata,"",@progbits
; Kernel info:
; codeLenInByte = 1240
; TotalNumSgprs: 27
; NumVgprs: 16
; ScratchSize: 0
; MemoryBound: 0
; FloatMode: 240
; IeeeMode: 1
; LDSByteSize: 8208 bytes/workgroup (compile time only)
; SGPRBlocks: 0
; VGPRBlocks: 1
; NumSGPRsForWavesPerEU: 27
; NumVGPRsForWavesPerEU: 16
; Occupancy: 15
; WaveLimiterHint : 1
; COMPUTE_PGM_RSRC2:SCRATCH_EN: 0
; COMPUTE_PGM_RSRC2:USER_SGPR: 2
; COMPUTE_PGM_RSRC2:TRAP_HANDLER: 0
; COMPUTE_PGM_RSRC2:TGID_X_EN: 1
; COMPUTE_PGM_RSRC2:TGID_Y_EN: 1
; COMPUTE_PGM_RSRC2:TGID_Z_EN: 0
; COMPUTE_PGM_RSRC2:TIDIG_COMP_CNT: 0
	.section	.text._ZN9rocsolver6v33100L23larf_right_kernel_smallILi256EfiPKPfEEvT1_S5_T2_lS5_lPKT0_lS6_lS5_l,"axG",@progbits,_ZN9rocsolver6v33100L23larf_right_kernel_smallILi256EfiPKPfEEvT1_S5_T2_lS5_lPKT0_lS6_lS5_l,comdat
	.globl	_ZN9rocsolver6v33100L23larf_right_kernel_smallILi256EfiPKPfEEvT1_S5_T2_lS5_lPKT0_lS6_lS5_l ; -- Begin function _ZN9rocsolver6v33100L23larf_right_kernel_smallILi256EfiPKPfEEvT1_S5_T2_lS5_lPKT0_lS6_lS5_l
	.p2align	8
	.type	_ZN9rocsolver6v33100L23larf_right_kernel_smallILi256EfiPKPfEEvT1_S5_T2_lS5_lPKT0_lS6_lS5_l,@function
_ZN9rocsolver6v33100L23larf_right_kernel_smallILi256EfiPKPfEEvT1_S5_T2_lS5_lPKT0_lS6_lS5_l: ; @_ZN9rocsolver6v33100L23larf_right_kernel_smallILi256EfiPKPfEEvT1_S5_T2_lS5_lPKT0_lS6_lS5_l
; %bb.0:
	s_clause 0x1
	s_load_b256 s[4:11], s[0:1], 0x28
	s_load_b64 s[12:13], s[0:1], 0x0
	s_mov_b32 s14, ttmp9
	s_ashr_i32 s15, ttmp9, 31
	v_lshlrev_b32_e32 v3, 2, v0
	s_lshl_b64 s[18:19], s[14:15], 3
	s_wait_kmcnt 0x0
	s_add_nc_u64 s[2:3], s[8:9], s[18:19]
	s_load_b64 s[16:17], s[2:3], 0x0
	v_cmp_gt_i32_e64 s2, s13, v0
	s_and_saveexec_b32 s3, s2
	s_cbranch_execz .LBB17_3
; %bb.1:
	s_clause 0x1
	s_load_b128 s[20:23], s[0:1], 0x8
	s_load_b32 s24, s[0:1], 0x18
	v_dual_mov_b32 v5, v0 :: v_dual_lshlrev_b32 v4, 2, v0
	s_wait_kmcnt 0x0
	s_add_nc_u64 s[8:9], s[20:21], s[18:19]
	s_sub_co_i32 s18, 1, s13
	s_load_b64 s[8:9], s[8:9], 0x0
	s_lshl_b64 s[20:21], s[22:23], 2
	s_mul_i32 s18, s24, s18
	s_cmp_lt_i32 s24, 1
	s_cselect_b32 s18, s18, 0
	s_delay_alu instid0(SALU_CYCLE_1)
	v_mad_co_u64_u32 v[1:2], null, v0, s24, s[18:19]
	s_mov_b32 s18, 0
	s_lshl_b32 s19, s24, 8
	s_wait_kmcnt 0x0
	s_add_nc_u64 s[8:9], s[8:9], s[20:21]
.LBB17_2:                               ; =>This Inner Loop Header: Depth=1
	v_ashrrev_i32_e32 v2, 31, v1
	v_add_nc_u32_e32 v5, 0x100, v5
	s_delay_alu instid0(VALU_DEP_2) | instskip(SKIP_2) | instid1(VALU_DEP_2)
	v_lshlrev_b64_e32 v[6:7], 2, v[1:2]
	s_wait_alu 0xfffe
	v_add_nc_u32_e32 v1, s19, v1
	v_add_co_u32 v6, vcc_lo, s8, v6
	s_wait_alu 0xfffd
	s_delay_alu instid0(VALU_DEP_3)
	v_add_co_ci_u32_e64 v7, null, s9, v7, vcc_lo
	v_cmp_le_i32_e32 vcc_lo, s13, v5
	flat_load_b32 v2, v[6:7]
	s_or_b32 s18, vcc_lo, s18
	s_wait_loadcnt_dscnt 0x0
	ds_store_b32 v4, v2
	v_add_nc_u32_e32 v4, 0x400, v4
	s_wait_alu 0xfffe
	s_and_not1_b32 exec_lo, exec_lo, s18
	s_cbranch_execnz .LBB17_2
.LBB17_3:
	s_or_b32 exec_lo, exec_lo, s3
	s_cmp_ge_i32 ttmp7, s12
	s_wait_dscnt 0x0
	s_barrier_signal -1
	s_barrier_wait -1
	global_inv scope:SCOPE_SE
	s_cbranch_scc1 .LBB17_23
; %bb.4:
	s_load_b32 s9, s[0:1], 0x48
	v_dual_mov_b32 v8, 0x2004 :: v_dual_and_b32 v1, 31, v0
	v_mbcnt_lo_u32_b32 v5, -1, 0
	s_lshl_b64 s[10:11], s[10:11], 2
	s_mul_u64 s[14:15], s[6:7], s[14:15]
	v_lshrrev_b32_e32 v4, 3, v0
	v_cmp_eq_u32_e64 s0, 0, v0
	s_wait_kmcnt 0x0
	s_add_nc_u64 s[6:7], s[16:17], s[10:11]
	s_lshl_b64 s[10:11], s[14:15], 2
	v_cmp_eq_u32_e64 s1, 0, v1
	v_lshl_or_b32 v6, v5, 2, 64
	v_mov_b32_e32 v9, 0x200c
	v_dual_mov_b32 v10, 0x2014 :: v_dual_mov_b32 v11, 0
	s_cmp_gt_i32 s13, 1
	s_mov_b32 s8, ttmp7
	s_add_nc_u64 s[4:5], s[4:5], s[10:11]
	s_cselect_b32 s3, -1, 0
	v_mul_lo_u32 v7, v0, s9
	s_lshl_b32 s14, s9, 8
	s_branch .LBB17_6
.LBB17_5:                               ;   in Loop: Header=BB17_6 Depth=1
	s_wait_alu 0xfffe
	s_or_b32 exec_lo, exec_lo, s9
	s_add_co_i32 s8, s8, 64
	s_wait_alu 0xfffe
	s_cmp_ge_i32 s8, s12
	s_cbranch_scc1 .LBB17_23
.LBB17_6:                               ; =>This Loop Header: Depth=1
                                        ;     Child Loop BB17_8 Depth 2
                                        ;     Child Loop BB17_22 Depth 2
	s_wait_alu 0xfffe
	s_ashr_i32 s9, s8, 31
	v_mov_b32_e32 v12, 0
	s_wait_alu 0xfffe
	s_lshl_b64 s[10:11], s[8:9], 2
	s_wait_alu 0xfffe
	s_add_nc_u64 s[10:11], s[6:7], s[10:11]
	s_and_saveexec_b32 s9, s2
	s_cbranch_execz .LBB17_10
; %bb.7:                                ;   in Loop: Header=BB17_6 Depth=1
	v_dual_mov_b32 v12, 0 :: v_dual_mov_b32 v1, v7
	v_dual_mov_b32 v13, v3 :: v_dual_mov_b32 v14, v0
	s_mov_b32 s15, 0
.LBB17_8:                               ;   Parent Loop BB17_6 Depth=1
                                        ; =>  This Inner Loop Header: Depth=2
	s_delay_alu instid0(VALU_DEP_2) | instskip(NEXT) | instid1(VALU_DEP_2)
	v_ashrrev_i32_e32 v2, 31, v1
	v_add_nc_u32_e32 v14, 0x100, v14
	s_delay_alu instid0(VALU_DEP_2) | instskip(SKIP_2) | instid1(VALU_DEP_2)
	v_lshlrev_b64_e32 v[15:16], 2, v[1:2]
	v_add_nc_u32_e32 v1, s14, v1
	s_wait_alu 0xfffe
	v_add_co_u32 v15, vcc_lo, s10, v15
	s_wait_alu 0xfffd
	s_delay_alu instid0(VALU_DEP_3)
	v_add_co_ci_u32_e64 v16, null, s11, v16, vcc_lo
	v_cmp_le_i32_e32 vcc_lo, s13, v14
	flat_load_b32 v2, v[15:16]
	ds_load_b32 v15, v13
	v_add_nc_u32_e32 v13, 0x400, v13
	s_or_b32 s15, vcc_lo, s15
	s_wait_loadcnt_dscnt 0x0
	v_fmac_f32_e32 v12, v15, v2
	s_wait_alu 0xfffe
	s_and_not1_b32 exec_lo, exec_lo, s15
	s_cbranch_execnz .LBB17_8
; %bb.9:                                ;   in Loop: Header=BB17_6 Depth=1
	s_or_b32 exec_lo, exec_lo, s15
.LBB17_10:                              ;   in Loop: Header=BB17_6 Depth=1
	s_wait_alu 0xfffe
	s_or_b32 exec_lo, exec_lo, s9
	s_delay_alu instid0(SALU_CYCLE_1)
	s_and_b32 vcc_lo, exec_lo, s3
	s_wait_alu 0xfffe
	s_cbranch_vccz .LBB17_17
; %bb.11:                               ;   in Loop: Header=BB17_6 Depth=1
	v_cmp_ne_u32_e32 vcc_lo, 31, v5
	s_wait_alu 0xfffd
	v_add_co_ci_u32_e64 v1, null, 0, v5, vcc_lo
	v_cmp_gt_u32_e32 vcc_lo, 30, v5
	s_delay_alu instid0(VALU_DEP_2)
	v_lshlrev_b32_e32 v1, 2, v1
	s_wait_alu 0xfffd
	v_cndmask_b32_e64 v2, 0, 2, vcc_lo
	v_cmp_gt_u32_e32 vcc_lo, 28, v5
	ds_bpermute_b32 v1, v1, v12
	v_add_lshl_u32 v2, v2, v5, 2
	s_wait_alu 0xfffd
	v_cndmask_b32_e64 v13, 0, 4, vcc_lo
	v_cmp_gt_u32_e32 vcc_lo, 24, v5
	s_delay_alu instid0(VALU_DEP_2)
	v_add_lshl_u32 v13, v13, v5, 2
	s_wait_dscnt 0x0
	v_add_f32_e32 v1, v12, v1
	ds_bpermute_b32 v2, v2, v1
	s_wait_dscnt 0x0
	v_add_f32_e32 v1, v1, v2
	ds_bpermute_b32 v2, v13, v1
	s_wait_alu 0xfffd
	v_cndmask_b32_e64 v13, 0, 8, vcc_lo
	s_wait_dscnt 0x0
	v_add_f32_e32 v1, v1, v2
	s_delay_alu instid0(VALU_DEP_2)
	v_add_lshl_u32 v2, v13, v5, 2
	ds_bpermute_b32 v2, v2, v1
	s_wait_dscnt 0x0
	v_add_f32_e32 v1, v1, v2
	ds_bpermute_b32 v2, v6, v1
	s_wait_dscnt 0x0
	v_add_f32_e32 v1, v1, v2
	s_and_saveexec_b32 s9, s1
; %bb.12:                               ;   in Loop: Header=BB17_6 Depth=1
	ds_store_b32 v4, v1 offset:8192
; %bb.13:                               ;   in Loop: Header=BB17_6 Depth=1
	s_wait_alu 0xfffe
	s_or_b32 exec_lo, exec_lo, s9
	s_mov_b32 s15, 0
	s_mov_b32 s9, 0
	s_wait_loadcnt_dscnt 0x0
	s_barrier_signal -1
	s_barrier_wait -1
	global_inv scope:SCOPE_SE
                                        ; implicit-def: $vgpr2
	s_and_saveexec_b32 s16, s0
	s_delay_alu instid0(SALU_CYCLE_1)
	s_xor_b32 s16, exec_lo, s16
	s_cbranch_execz .LBB17_15
; %bb.14:                               ;   in Loop: Header=BB17_6 Depth=1
	ds_load_2addr_b32 v[13:14], v8 offset1:1
	ds_load_2addr_b32 v[15:16], v9 offset1:1
	;; [unrolled: 1-line block ×3, first 2 shown]
	ds_load_b32 v2, v11 offset:8220
	s_mov_b32 s9, exec_lo
	s_wait_dscnt 0x3
	v_add_f32_e32 v1, v1, v13
	s_delay_alu instid0(VALU_DEP_1) | instskip(SKIP_1) | instid1(VALU_DEP_1)
	v_add_f32_e32 v1, v1, v14
	s_wait_dscnt 0x2
	v_add_f32_e32 v1, v1, v15
	s_delay_alu instid0(VALU_DEP_1) | instskip(SKIP_1) | instid1(VALU_DEP_1)
	v_add_f32_e32 v1, v1, v16
	;; [unrolled: 4-line block ×3, first 2 shown]
	s_wait_dscnt 0x0
	v_add_f32_e32 v2, v1, v2
.LBB17_15:                              ;   in Loop: Header=BB17_6 Depth=1
	s_or_b32 exec_lo, exec_lo, s16
	s_wait_alu 0xfffe
	s_and_b32 vcc_lo, exec_lo, s15
	s_wait_alu 0xfffe
	s_cbranch_vccnz .LBB17_18
.LBB17_16:                              ;   in Loop: Header=BB17_6 Depth=1
	v_mov_b32_e32 v12, v2
	s_wait_alu 0xfffe
	s_and_saveexec_b32 s15, s9
	s_cbranch_execnz .LBB17_19
	s_branch .LBB17_20
.LBB17_17:                              ;   in Loop: Header=BB17_6 Depth=1
	s_mov_b32 s9, 0
                                        ; implicit-def: $vgpr2
	s_cbranch_execz .LBB17_16
.LBB17_18:                              ;   in Loop: Header=BB17_6 Depth=1
	s_wait_alu 0xfffe
	s_and_not1_b32 s9, s9, exec_lo
	s_and_b32 s15, s0, exec_lo
	s_wait_alu 0xfffe
	s_or_b32 s9, s9, s15
	s_wait_alu 0xfffe
	s_and_saveexec_b32 s15, s9
.LBB17_19:                              ;   in Loop: Header=BB17_6 Depth=1
	ds_store_b32 v11, v12 offset:8192
.LBB17_20:                              ;   in Loop: Header=BB17_6 Depth=1
	s_wait_alu 0xfffe
	s_or_b32 exec_lo, exec_lo, s15
	s_wait_loadcnt_dscnt 0x0
	s_barrier_signal -1
	s_barrier_wait -1
	global_inv scope:SCOPE_SE
	s_and_saveexec_b32 s9, s2
	s_cbranch_execz .LBB17_5
; %bb.21:                               ;   in Loop: Header=BB17_6 Depth=1
	global_load_b32 v1, v11, s[4:5]
	ds_load_b32 v2, v11 offset:8192
	v_mov_b32_e32 v12, v3
	s_mov_b32 s15, 0
	v_mov_b32_e32 v14, v0
	s_wait_loadcnt 0x0
	v_xor_b32_e32 v13, 0x80000000, v1
	v_mov_b32_e32 v1, v7
	s_wait_dscnt 0x0
	s_delay_alu instid0(VALU_DEP_2)
	v_mul_f32_e32 v13, v2, v13
.LBB17_22:                              ;   Parent Loop BB17_6 Depth=1
                                        ; =>  This Inner Loop Header: Depth=2
	s_delay_alu instid0(VALU_DEP_2)
	v_ashrrev_i32_e32 v2, 31, v1
	ds_load_b32 v17, v12
	v_add_nc_u32_e32 v14, 0x100, v14
	v_add_nc_u32_e32 v12, 0x400, v12
	v_lshlrev_b64_e32 v[15:16], 2, v[1:2]
	v_add_nc_u32_e32 v1, s14, v1
	s_delay_alu instid0(VALU_DEP_2) | instskip(SKIP_1) | instid1(VALU_DEP_3)
	v_add_co_u32 v15, vcc_lo, s10, v15
	s_wait_alu 0xfffd
	v_add_co_ci_u32_e64 v16, null, s11, v16, vcc_lo
	v_cmp_le_i32_e32 vcc_lo, s13, v14
	flat_load_b32 v2, v[15:16]
	s_wait_alu 0xfffe
	s_or_b32 s15, vcc_lo, s15
	s_wait_loadcnt_dscnt 0x0
	v_fmac_f32_e32 v2, v13, v17
	flat_store_b32 v[15:16], v2
	s_wait_alu 0xfffe
	s_and_not1_b32 exec_lo, exec_lo, s15
	s_cbranch_execnz .LBB17_22
	s_branch .LBB17_5
.LBB17_23:
	s_endpgm
	.section	.rodata,"a",@progbits
	.p2align	6, 0x0
	.amdhsa_kernel _ZN9rocsolver6v33100L23larf_right_kernel_smallILi256EfiPKPfEEvT1_S5_T2_lS5_lPKT0_lS6_lS5_l
		.amdhsa_group_segment_fixed_size 8224
		.amdhsa_private_segment_fixed_size 0
		.amdhsa_kernarg_size 88
		.amdhsa_user_sgpr_count 2
		.amdhsa_user_sgpr_dispatch_ptr 0
		.amdhsa_user_sgpr_queue_ptr 0
		.amdhsa_user_sgpr_kernarg_segment_ptr 1
		.amdhsa_user_sgpr_dispatch_id 0
		.amdhsa_user_sgpr_private_segment_size 0
		.amdhsa_wavefront_size32 1
		.amdhsa_uses_dynamic_stack 0
		.amdhsa_enable_private_segment 0
		.amdhsa_system_sgpr_workgroup_id_x 1
		.amdhsa_system_sgpr_workgroup_id_y 1
		.amdhsa_system_sgpr_workgroup_id_z 0
		.amdhsa_system_sgpr_workgroup_info 0
		.amdhsa_system_vgpr_workitem_id 0
		.amdhsa_next_free_vgpr 19
		.amdhsa_next_free_sgpr 25
		.amdhsa_reserve_vcc 1
		.amdhsa_float_round_mode_32 0
		.amdhsa_float_round_mode_16_64 0
		.amdhsa_float_denorm_mode_32 3
		.amdhsa_float_denorm_mode_16_64 3
		.amdhsa_fp16_overflow 0
		.amdhsa_workgroup_processor_mode 1
		.amdhsa_memory_ordered 1
		.amdhsa_forward_progress 1
		.amdhsa_inst_pref_size 11
		.amdhsa_round_robin_scheduling 0
		.amdhsa_exception_fp_ieee_invalid_op 0
		.amdhsa_exception_fp_denorm_src 0
		.amdhsa_exception_fp_ieee_div_zero 0
		.amdhsa_exception_fp_ieee_overflow 0
		.amdhsa_exception_fp_ieee_underflow 0
		.amdhsa_exception_fp_ieee_inexact 0
		.amdhsa_exception_int_div_zero 0
	.end_amdhsa_kernel
	.section	.text._ZN9rocsolver6v33100L23larf_right_kernel_smallILi256EfiPKPfEEvT1_S5_T2_lS5_lPKT0_lS6_lS5_l,"axG",@progbits,_ZN9rocsolver6v33100L23larf_right_kernel_smallILi256EfiPKPfEEvT1_S5_T2_lS5_lPKT0_lS6_lS5_l,comdat
.Lfunc_end17:
	.size	_ZN9rocsolver6v33100L23larf_right_kernel_smallILi256EfiPKPfEEvT1_S5_T2_lS5_lPKT0_lS6_lS5_l, .Lfunc_end17-_ZN9rocsolver6v33100L23larf_right_kernel_smallILi256EfiPKPfEEvT1_S5_T2_lS5_lPKT0_lS6_lS5_l
                                        ; -- End function
	.set _ZN9rocsolver6v33100L23larf_right_kernel_smallILi256EfiPKPfEEvT1_S5_T2_lS5_lPKT0_lS6_lS5_l.num_vgpr, 19
	.set _ZN9rocsolver6v33100L23larf_right_kernel_smallILi256EfiPKPfEEvT1_S5_T2_lS5_lPKT0_lS6_lS5_l.num_agpr, 0
	.set _ZN9rocsolver6v33100L23larf_right_kernel_smallILi256EfiPKPfEEvT1_S5_T2_lS5_lPKT0_lS6_lS5_l.numbered_sgpr, 25
	.set _ZN9rocsolver6v33100L23larf_right_kernel_smallILi256EfiPKPfEEvT1_S5_T2_lS5_lPKT0_lS6_lS5_l.num_named_barrier, 0
	.set _ZN9rocsolver6v33100L23larf_right_kernel_smallILi256EfiPKPfEEvT1_S5_T2_lS5_lPKT0_lS6_lS5_l.private_seg_size, 0
	.set _ZN9rocsolver6v33100L23larf_right_kernel_smallILi256EfiPKPfEEvT1_S5_T2_lS5_lPKT0_lS6_lS5_l.uses_vcc, 1
	.set _ZN9rocsolver6v33100L23larf_right_kernel_smallILi256EfiPKPfEEvT1_S5_T2_lS5_lPKT0_lS6_lS5_l.uses_flat_scratch, 0
	.set _ZN9rocsolver6v33100L23larf_right_kernel_smallILi256EfiPKPfEEvT1_S5_T2_lS5_lPKT0_lS6_lS5_l.has_dyn_sized_stack, 0
	.set _ZN9rocsolver6v33100L23larf_right_kernel_smallILi256EfiPKPfEEvT1_S5_T2_lS5_lPKT0_lS6_lS5_l.has_recursion, 0
	.set _ZN9rocsolver6v33100L23larf_right_kernel_smallILi256EfiPKPfEEvT1_S5_T2_lS5_lPKT0_lS6_lS5_l.has_indirect_call, 0
	.section	.AMDGPU.csdata,"",@progbits
; Kernel info:
; codeLenInByte = 1304
; TotalNumSgprs: 27
; NumVgprs: 19
; ScratchSize: 0
; MemoryBound: 0
; FloatMode: 240
; IeeeMode: 1
; LDSByteSize: 8224 bytes/workgroup (compile time only)
; SGPRBlocks: 0
; VGPRBlocks: 2
; NumSGPRsForWavesPerEU: 27
; NumVGPRsForWavesPerEU: 19
; Occupancy: 16
; WaveLimiterHint : 1
; COMPUTE_PGM_RSRC2:SCRATCH_EN: 0
; COMPUTE_PGM_RSRC2:USER_SGPR: 2
; COMPUTE_PGM_RSRC2:TRAP_HANDLER: 0
; COMPUTE_PGM_RSRC2:TGID_X_EN: 1
; COMPUTE_PGM_RSRC2:TGID_Y_EN: 1
; COMPUTE_PGM_RSRC2:TGID_Z_EN: 0
; COMPUTE_PGM_RSRC2:TIDIG_COMP_CNT: 0
	.section	.text._ZN9rocsolver6v33100L23larf_right_kernel_smallILi512EfiPKPfEEvT1_S5_T2_lS5_lPKT0_lS6_lS5_l,"axG",@progbits,_ZN9rocsolver6v33100L23larf_right_kernel_smallILi512EfiPKPfEEvT1_S5_T2_lS5_lPKT0_lS6_lS5_l,comdat
	.globl	_ZN9rocsolver6v33100L23larf_right_kernel_smallILi512EfiPKPfEEvT1_S5_T2_lS5_lPKT0_lS6_lS5_l ; -- Begin function _ZN9rocsolver6v33100L23larf_right_kernel_smallILi512EfiPKPfEEvT1_S5_T2_lS5_lPKT0_lS6_lS5_l
	.p2align	8
	.type	_ZN9rocsolver6v33100L23larf_right_kernel_smallILi512EfiPKPfEEvT1_S5_T2_lS5_lPKT0_lS6_lS5_l,@function
_ZN9rocsolver6v33100L23larf_right_kernel_smallILi512EfiPKPfEEvT1_S5_T2_lS5_lPKT0_lS6_lS5_l: ; @_ZN9rocsolver6v33100L23larf_right_kernel_smallILi512EfiPKPfEEvT1_S5_T2_lS5_lPKT0_lS6_lS5_l
; %bb.0:
	s_clause 0x1
	s_load_b256 s[4:11], s[0:1], 0x28
	s_load_b64 s[12:13], s[0:1], 0x0
	s_mov_b32 s16, ttmp9
	s_ashr_i32 s17, ttmp9, 31
	v_lshlrev_b32_e32 v3, 2, v0
	s_lshl_b64 s[18:19], s[16:17], 3
	s_wait_kmcnt 0x0
	s_add_nc_u64 s[2:3], s[8:9], s[18:19]
	s_load_b64 s[14:15], s[2:3], 0x0
	v_cmp_gt_i32_e64 s2, s13, v0
	s_and_saveexec_b32 s3, s2
	s_cbranch_execz .LBB18_3
; %bb.1:
	s_clause 0x1
	s_load_b128 s[20:23], s[0:1], 0x8
	s_load_b32 s24, s[0:1], 0x18
	v_dual_mov_b32 v5, v0 :: v_dual_lshlrev_b32 v4, 2, v0
	s_wait_kmcnt 0x0
	s_add_nc_u64 s[8:9], s[20:21], s[18:19]
	s_sub_co_i32 s18, 1, s13
	s_load_b64 s[8:9], s[8:9], 0x0
	s_lshl_b64 s[20:21], s[22:23], 2
	s_mul_i32 s18, s24, s18
	s_cmp_lt_i32 s24, 1
	s_cselect_b32 s18, s18, 0
	s_delay_alu instid0(SALU_CYCLE_1)
	v_mad_co_u64_u32 v[1:2], null, v0, s24, s[18:19]
	s_mov_b32 s18, 0
	s_lshl_b32 s19, s24, 9
	s_wait_kmcnt 0x0
	s_add_nc_u64 s[8:9], s[8:9], s[20:21]
.LBB18_2:                               ; =>This Inner Loop Header: Depth=1
	v_ashrrev_i32_e32 v2, 31, v1
	v_add_nc_u32_e32 v5, 0x200, v5
	s_delay_alu instid0(VALU_DEP_2) | instskip(SKIP_2) | instid1(VALU_DEP_2)
	v_lshlrev_b64_e32 v[6:7], 2, v[1:2]
	s_wait_alu 0xfffe
	v_add_nc_u32_e32 v1, s19, v1
	v_add_co_u32 v6, vcc_lo, s8, v6
	s_wait_alu 0xfffd
	s_delay_alu instid0(VALU_DEP_3)
	v_add_co_ci_u32_e64 v7, null, s9, v7, vcc_lo
	v_cmp_le_i32_e32 vcc_lo, s13, v5
	flat_load_b32 v2, v[6:7]
	s_or_b32 s18, vcc_lo, s18
	s_wait_loadcnt_dscnt 0x0
	ds_store_b32 v4, v2
	v_add_nc_u32_e32 v4, 0x800, v4
	s_wait_alu 0xfffe
	s_and_not1_b32 exec_lo, exec_lo, s18
	s_cbranch_execnz .LBB18_2
.LBB18_3:
	s_or_b32 exec_lo, exec_lo, s3
	s_cmp_ge_i32 ttmp7, s12
	s_wait_dscnt 0x0
	s_barrier_signal -1
	s_barrier_wait -1
	global_inv scope:SCOPE_SE
	s_cbranch_scc1 .LBB18_23
; %bb.4:
	s_load_b32 s9, s[0:1], 0x48
	v_dual_mov_b32 v6, 0x2004 :: v_dual_and_b32 v1, 31, v0
	v_mbcnt_lo_u32_b32 v5, -1, 0
	s_lshl_b64 s[10:11], s[10:11], 2
	s_mul_u64 s[16:17], s[6:7], s[16:17]
	v_lshrrev_b32_e32 v4, 3, v0
	v_cmp_eq_u32_e64 s0, 0, v0
	v_mov_b32_e32 v7, 0x200c
	v_dual_mov_b32 v8, 0x2014 :: v_dual_mov_b32 v15, 0
	v_mov_b32_e32 v9, 0x201c
	s_wait_kmcnt 0x0
	s_add_nc_u64 s[6:7], s[14:15], s[10:11]
	s_lshl_b64 s[10:11], s[16:17], 2
	v_cmp_eq_u32_e64 s1, 0, v1
	v_lshl_or_b32 v10, v5, 2, 64
	v_mov_b32_e32 v12, 0x2024
	v_mov_b32_e32 v13, 0x202c
	;; [unrolled: 1-line block ×3, first 2 shown]
	s_cmp_gt_i32 s13, 1
	v_mul_lo_u32 v11, v0, s9
	s_mov_b32 s8, ttmp7
	s_add_nc_u64 s[4:5], s[4:5], s[10:11]
	s_cselect_b32 s3, -1, 0
	s_lshl_b32 s14, s9, 9
	s_branch .LBB18_6
.LBB18_5:                               ;   in Loop: Header=BB18_6 Depth=1
	s_wait_alu 0xfffe
	s_or_b32 exec_lo, exec_lo, s9
	s_add_co_i32 s8, s8, 64
	s_wait_alu 0xfffe
	s_cmp_ge_i32 s8, s12
	s_cbranch_scc1 .LBB18_23
.LBB18_6:                               ; =>This Loop Header: Depth=1
                                        ;     Child Loop BB18_8 Depth 2
                                        ;     Child Loop BB18_22 Depth 2
	s_wait_alu 0xfffe
	s_ashr_i32 s9, s8, 31
	v_mov_b32_e32 v16, 0
	s_wait_alu 0xfffe
	s_lshl_b64 s[10:11], s[8:9], 2
	s_wait_alu 0xfffe
	s_add_nc_u64 s[10:11], s[6:7], s[10:11]
	s_and_saveexec_b32 s9, s2
	s_cbranch_execz .LBB18_10
; %bb.7:                                ;   in Loop: Header=BB18_6 Depth=1
	v_dual_mov_b32 v16, 0 :: v_dual_mov_b32 v1, v11
	v_dual_mov_b32 v17, v3 :: v_dual_mov_b32 v18, v0
	s_mov_b32 s15, 0
.LBB18_8:                               ;   Parent Loop BB18_6 Depth=1
                                        ; =>  This Inner Loop Header: Depth=2
	s_delay_alu instid0(VALU_DEP_2) | instskip(NEXT) | instid1(VALU_DEP_2)
	v_ashrrev_i32_e32 v2, 31, v1
	v_add_nc_u32_e32 v18, 0x200, v18
	s_delay_alu instid0(VALU_DEP_2) | instskip(SKIP_2) | instid1(VALU_DEP_2)
	v_lshlrev_b64_e32 v[19:20], 2, v[1:2]
	v_add_nc_u32_e32 v1, s14, v1
	s_wait_alu 0xfffe
	v_add_co_u32 v19, vcc_lo, s10, v19
	s_wait_alu 0xfffd
	s_delay_alu instid0(VALU_DEP_3)
	v_add_co_ci_u32_e64 v20, null, s11, v20, vcc_lo
	v_cmp_le_i32_e32 vcc_lo, s13, v18
	flat_load_b32 v2, v[19:20]
	ds_load_b32 v19, v17
	v_add_nc_u32_e32 v17, 0x800, v17
	s_or_b32 s15, vcc_lo, s15
	s_wait_loadcnt_dscnt 0x0
	v_fmac_f32_e32 v16, v19, v2
	s_wait_alu 0xfffe
	s_and_not1_b32 exec_lo, exec_lo, s15
	s_cbranch_execnz .LBB18_8
; %bb.9:                                ;   in Loop: Header=BB18_6 Depth=1
	s_or_b32 exec_lo, exec_lo, s15
.LBB18_10:                              ;   in Loop: Header=BB18_6 Depth=1
	s_wait_alu 0xfffe
	s_or_b32 exec_lo, exec_lo, s9
	s_delay_alu instid0(SALU_CYCLE_1)
	s_and_b32 vcc_lo, exec_lo, s3
	s_wait_alu 0xfffe
	s_cbranch_vccz .LBB18_17
; %bb.11:                               ;   in Loop: Header=BB18_6 Depth=1
	v_cmp_ne_u32_e32 vcc_lo, 31, v5
	s_wait_alu 0xfffd
	v_add_co_ci_u32_e64 v1, null, 0, v5, vcc_lo
	v_cmp_gt_u32_e32 vcc_lo, 30, v5
	s_delay_alu instid0(VALU_DEP_2)
	v_lshlrev_b32_e32 v1, 2, v1
	s_wait_alu 0xfffd
	v_cndmask_b32_e64 v2, 0, 2, vcc_lo
	v_cmp_gt_u32_e32 vcc_lo, 28, v5
	ds_bpermute_b32 v1, v1, v16
	v_add_lshl_u32 v2, v2, v5, 2
	s_wait_alu 0xfffd
	v_cndmask_b32_e64 v17, 0, 4, vcc_lo
	v_cmp_gt_u32_e32 vcc_lo, 24, v5
	s_delay_alu instid0(VALU_DEP_2)
	v_add_lshl_u32 v17, v17, v5, 2
	s_wait_dscnt 0x0
	v_add_f32_e32 v1, v16, v1
	ds_bpermute_b32 v2, v2, v1
	s_wait_dscnt 0x0
	v_add_f32_e32 v1, v1, v2
	ds_bpermute_b32 v2, v17, v1
	s_wait_alu 0xfffd
	v_cndmask_b32_e64 v17, 0, 8, vcc_lo
	s_wait_dscnt 0x0
	v_add_f32_e32 v1, v1, v2
	s_delay_alu instid0(VALU_DEP_2)
	v_add_lshl_u32 v2, v17, v5, 2
	ds_bpermute_b32 v2, v2, v1
	s_wait_dscnt 0x0
	v_add_f32_e32 v1, v1, v2
	ds_bpermute_b32 v2, v10, v1
	s_wait_dscnt 0x0
	v_add_f32_e32 v1, v1, v2
	s_and_saveexec_b32 s9, s1
; %bb.12:                               ;   in Loop: Header=BB18_6 Depth=1
	ds_store_b32 v4, v1 offset:8192
; %bb.13:                               ;   in Loop: Header=BB18_6 Depth=1
	s_wait_alu 0xfffe
	s_or_b32 exec_lo, exec_lo, s9
	s_mov_b32 s15, 0
	s_mov_b32 s9, 0
	s_wait_loadcnt_dscnt 0x0
	s_barrier_signal -1
	s_barrier_wait -1
	global_inv scope:SCOPE_SE
                                        ; implicit-def: $vgpr2
	s_and_saveexec_b32 s16, s0
	s_delay_alu instid0(SALU_CYCLE_1)
	s_xor_b32 s16, exec_lo, s16
	s_cbranch_execz .LBB18_15
; %bb.14:                               ;   in Loop: Header=BB18_6 Depth=1
	ds_load_2addr_b32 v[17:18], v6 offset1:1
	ds_load_2addr_b32 v[19:20], v7 offset1:1
	;; [unrolled: 1-line block ×4, first 2 shown]
	s_mov_b32 s9, exec_lo
	s_wait_dscnt 0x3
	v_add_f32_e32 v1, v1, v17
	s_delay_alu instid0(VALU_DEP_1) | instskip(SKIP_1) | instid1(VALU_DEP_1)
	v_add_f32_e32 v1, v1, v18
	s_wait_dscnt 0x2
	v_add_f32_e32 v1, v1, v19
	s_delay_alu instid0(VALU_DEP_1) | instskip(SKIP_1) | instid1(VALU_DEP_1)
	v_add_f32_e32 v1, v1, v20
	s_wait_dscnt 0x1
	v_add_f32_e32 v17, v1, v21
	ds_load_2addr_b32 v[1:2], v12 offset1:1
	v_add_f32_e32 v17, v17, v22
	s_wait_dscnt 0x1
	s_delay_alu instid0(VALU_DEP_1)
	v_add_f32_e32 v19, v17, v23
	ds_load_2addr_b32 v[17:18], v13 offset1:1
	v_add_f32_e32 v21, v19, v24
	ds_load_2addr_b32 v[19:20], v14 offset1:1
	ds_load_b32 v22, v15 offset:8252
	s_wait_dscnt 0x3
	v_add_f32_e32 v1, v21, v1
	s_delay_alu instid0(VALU_DEP_1) | instskip(SKIP_1) | instid1(VALU_DEP_1)
	v_add_f32_e32 v1, v1, v2
	s_wait_dscnt 0x2
	v_add_f32_e32 v1, v1, v17
	s_delay_alu instid0(VALU_DEP_1) | instskip(SKIP_1) | instid1(VALU_DEP_1)
	v_add_f32_e32 v1, v1, v18
	;; [unrolled: 4-line block ×3, first 2 shown]
	s_wait_dscnt 0x0
	v_add_f32_e32 v2, v1, v22
.LBB18_15:                              ;   in Loop: Header=BB18_6 Depth=1
	s_or_b32 exec_lo, exec_lo, s16
	s_wait_alu 0xfffe
	s_and_b32 vcc_lo, exec_lo, s15
	s_wait_alu 0xfffe
	s_cbranch_vccnz .LBB18_18
.LBB18_16:                              ;   in Loop: Header=BB18_6 Depth=1
	v_mov_b32_e32 v16, v2
	s_wait_alu 0xfffe
	s_and_saveexec_b32 s15, s9
	s_cbranch_execnz .LBB18_19
	s_branch .LBB18_20
.LBB18_17:                              ;   in Loop: Header=BB18_6 Depth=1
	s_mov_b32 s9, 0
                                        ; implicit-def: $vgpr2
	s_cbranch_execz .LBB18_16
.LBB18_18:                              ;   in Loop: Header=BB18_6 Depth=1
	s_wait_alu 0xfffe
	s_and_not1_b32 s9, s9, exec_lo
	s_and_b32 s15, s0, exec_lo
	s_wait_alu 0xfffe
	s_or_b32 s9, s9, s15
	s_wait_alu 0xfffe
	s_and_saveexec_b32 s15, s9
.LBB18_19:                              ;   in Loop: Header=BB18_6 Depth=1
	ds_store_b32 v15, v16 offset:8192
.LBB18_20:                              ;   in Loop: Header=BB18_6 Depth=1
	s_wait_alu 0xfffe
	s_or_b32 exec_lo, exec_lo, s15
	s_wait_loadcnt_dscnt 0x0
	s_barrier_signal -1
	s_barrier_wait -1
	global_inv scope:SCOPE_SE
	s_and_saveexec_b32 s9, s2
	s_cbranch_execz .LBB18_5
; %bb.21:                               ;   in Loop: Header=BB18_6 Depth=1
	global_load_b32 v1, v15, s[4:5]
	ds_load_b32 v2, v15 offset:8192
	v_mov_b32_e32 v16, v3
	s_mov_b32 s15, 0
	v_mov_b32_e32 v18, v0
	s_wait_loadcnt 0x0
	v_xor_b32_e32 v17, 0x80000000, v1
	v_mov_b32_e32 v1, v11
	s_wait_dscnt 0x0
	s_delay_alu instid0(VALU_DEP_2)
	v_mul_f32_e32 v17, v2, v17
.LBB18_22:                              ;   Parent Loop BB18_6 Depth=1
                                        ; =>  This Inner Loop Header: Depth=2
	s_delay_alu instid0(VALU_DEP_2)
	v_ashrrev_i32_e32 v2, 31, v1
	ds_load_b32 v21, v16
	v_add_nc_u32_e32 v18, 0x200, v18
	v_add_nc_u32_e32 v16, 0x800, v16
	v_lshlrev_b64_e32 v[19:20], 2, v[1:2]
	v_add_nc_u32_e32 v1, s14, v1
	s_delay_alu instid0(VALU_DEP_2) | instskip(SKIP_1) | instid1(VALU_DEP_3)
	v_add_co_u32 v19, vcc_lo, s10, v19
	s_wait_alu 0xfffd
	v_add_co_ci_u32_e64 v20, null, s11, v20, vcc_lo
	v_cmp_le_i32_e32 vcc_lo, s13, v18
	flat_load_b32 v2, v[19:20]
	s_wait_alu 0xfffe
	s_or_b32 s15, vcc_lo, s15
	s_wait_loadcnt_dscnt 0x0
	v_fmac_f32_e32 v2, v17, v21
	flat_store_b32 v[19:20], v2
	s_wait_alu 0xfffe
	s_and_not1_b32 exec_lo, exec_lo, s15
	s_cbranch_execnz .LBB18_22
	s_branch .LBB18_5
.LBB18_23:
	s_endpgm
	.section	.rodata,"a",@progbits
	.p2align	6, 0x0
	.amdhsa_kernel _ZN9rocsolver6v33100L23larf_right_kernel_smallILi512EfiPKPfEEvT1_S5_T2_lS5_lPKT0_lS6_lS5_l
		.amdhsa_group_segment_fixed_size 8256
		.amdhsa_private_segment_fixed_size 0
		.amdhsa_kernarg_size 88
		.amdhsa_user_sgpr_count 2
		.amdhsa_user_sgpr_dispatch_ptr 0
		.amdhsa_user_sgpr_queue_ptr 0
		.amdhsa_user_sgpr_kernarg_segment_ptr 1
		.amdhsa_user_sgpr_dispatch_id 0
		.amdhsa_user_sgpr_private_segment_size 0
		.amdhsa_wavefront_size32 1
		.amdhsa_uses_dynamic_stack 0
		.amdhsa_enable_private_segment 0
		.amdhsa_system_sgpr_workgroup_id_x 1
		.amdhsa_system_sgpr_workgroup_id_y 1
		.amdhsa_system_sgpr_workgroup_id_z 0
		.amdhsa_system_sgpr_workgroup_info 0
		.amdhsa_system_vgpr_workitem_id 0
		.amdhsa_next_free_vgpr 25
		.amdhsa_next_free_sgpr 25
		.amdhsa_reserve_vcc 1
		.amdhsa_float_round_mode_32 0
		.amdhsa_float_round_mode_16_64 0
		.amdhsa_float_denorm_mode_32 3
		.amdhsa_float_denorm_mode_16_64 3
		.amdhsa_fp16_overflow 0
		.amdhsa_workgroup_processor_mode 1
		.amdhsa_memory_ordered 1
		.amdhsa_forward_progress 1
		.amdhsa_inst_pref_size 12
		.amdhsa_round_robin_scheduling 0
		.amdhsa_exception_fp_ieee_invalid_op 0
		.amdhsa_exception_fp_denorm_src 0
		.amdhsa_exception_fp_ieee_div_zero 0
		.amdhsa_exception_fp_ieee_overflow 0
		.amdhsa_exception_fp_ieee_underflow 0
		.amdhsa_exception_fp_ieee_inexact 0
		.amdhsa_exception_int_div_zero 0
	.end_amdhsa_kernel
	.section	.text._ZN9rocsolver6v33100L23larf_right_kernel_smallILi512EfiPKPfEEvT1_S5_T2_lS5_lPKT0_lS6_lS5_l,"axG",@progbits,_ZN9rocsolver6v33100L23larf_right_kernel_smallILi512EfiPKPfEEvT1_S5_T2_lS5_lPKT0_lS6_lS5_l,comdat
.Lfunc_end18:
	.size	_ZN9rocsolver6v33100L23larf_right_kernel_smallILi512EfiPKPfEEvT1_S5_T2_lS5_lPKT0_lS6_lS5_l, .Lfunc_end18-_ZN9rocsolver6v33100L23larf_right_kernel_smallILi512EfiPKPfEEvT1_S5_T2_lS5_lPKT0_lS6_lS5_l
                                        ; -- End function
	.set _ZN9rocsolver6v33100L23larf_right_kernel_smallILi512EfiPKPfEEvT1_S5_T2_lS5_lPKT0_lS6_lS5_l.num_vgpr, 25
	.set _ZN9rocsolver6v33100L23larf_right_kernel_smallILi512EfiPKPfEEvT1_S5_T2_lS5_lPKT0_lS6_lS5_l.num_agpr, 0
	.set _ZN9rocsolver6v33100L23larf_right_kernel_smallILi512EfiPKPfEEvT1_S5_T2_lS5_lPKT0_lS6_lS5_l.numbered_sgpr, 25
	.set _ZN9rocsolver6v33100L23larf_right_kernel_smallILi512EfiPKPfEEvT1_S5_T2_lS5_lPKT0_lS6_lS5_l.num_named_barrier, 0
	.set _ZN9rocsolver6v33100L23larf_right_kernel_smallILi512EfiPKPfEEvT1_S5_T2_lS5_lPKT0_lS6_lS5_l.private_seg_size, 0
	.set _ZN9rocsolver6v33100L23larf_right_kernel_smallILi512EfiPKPfEEvT1_S5_T2_lS5_lPKT0_lS6_lS5_l.uses_vcc, 1
	.set _ZN9rocsolver6v33100L23larf_right_kernel_smallILi512EfiPKPfEEvT1_S5_T2_lS5_lPKT0_lS6_lS5_l.uses_flat_scratch, 0
	.set _ZN9rocsolver6v33100L23larf_right_kernel_smallILi512EfiPKPfEEvT1_S5_T2_lS5_lPKT0_lS6_lS5_l.has_dyn_sized_stack, 0
	.set _ZN9rocsolver6v33100L23larf_right_kernel_smallILi512EfiPKPfEEvT1_S5_T2_lS5_lPKT0_lS6_lS5_l.has_recursion, 0
	.set _ZN9rocsolver6v33100L23larf_right_kernel_smallILi512EfiPKPfEEvT1_S5_T2_lS5_lPKT0_lS6_lS5_l.has_indirect_call, 0
	.section	.AMDGPU.csdata,"",@progbits
; Kernel info:
; codeLenInByte = 1428
; TotalNumSgprs: 27
; NumVgprs: 25
; ScratchSize: 0
; MemoryBound: 0
; FloatMode: 240
; IeeeMode: 1
; LDSByteSize: 8256 bytes/workgroup (compile time only)
; SGPRBlocks: 0
; VGPRBlocks: 3
; NumSGPRsForWavesPerEU: 27
; NumVGPRsForWavesPerEU: 25
; Occupancy: 16
; WaveLimiterHint : 1
; COMPUTE_PGM_RSRC2:SCRATCH_EN: 0
; COMPUTE_PGM_RSRC2:USER_SGPR: 2
; COMPUTE_PGM_RSRC2:TRAP_HANDLER: 0
; COMPUTE_PGM_RSRC2:TGID_X_EN: 1
; COMPUTE_PGM_RSRC2:TGID_Y_EN: 1
; COMPUTE_PGM_RSRC2:TGID_Z_EN: 0
; COMPUTE_PGM_RSRC2:TIDIG_COMP_CNT: 0
	.section	.text._ZN9rocsolver6v33100L23larf_right_kernel_smallILi1024EfiPKPfEEvT1_S5_T2_lS5_lPKT0_lS6_lS5_l,"axG",@progbits,_ZN9rocsolver6v33100L23larf_right_kernel_smallILi1024EfiPKPfEEvT1_S5_T2_lS5_lPKT0_lS6_lS5_l,comdat
	.globl	_ZN9rocsolver6v33100L23larf_right_kernel_smallILi1024EfiPKPfEEvT1_S5_T2_lS5_lPKT0_lS6_lS5_l ; -- Begin function _ZN9rocsolver6v33100L23larf_right_kernel_smallILi1024EfiPKPfEEvT1_S5_T2_lS5_lPKT0_lS6_lS5_l
	.p2align	8
	.type	_ZN9rocsolver6v33100L23larf_right_kernel_smallILi1024EfiPKPfEEvT1_S5_T2_lS5_lPKT0_lS6_lS5_l,@function
_ZN9rocsolver6v33100L23larf_right_kernel_smallILi1024EfiPKPfEEvT1_S5_T2_lS5_lPKT0_lS6_lS5_l: ; @_ZN9rocsolver6v33100L23larf_right_kernel_smallILi1024EfiPKPfEEvT1_S5_T2_lS5_lPKT0_lS6_lS5_l
; %bb.0:
	s_clause 0x1
	s_load_b256 s[4:11], s[0:1], 0x28
	s_load_b64 s[12:13], s[0:1], 0x0
	s_mov_b32 s16, ttmp9
	s_ashr_i32 s17, ttmp9, 31
	v_lshlrev_b32_e32 v3, 2, v0
	s_lshl_b64 s[18:19], s[16:17], 3
	s_wait_kmcnt 0x0
	s_add_nc_u64 s[2:3], s[8:9], s[18:19]
	s_load_b64 s[14:15], s[2:3], 0x0
	v_cmp_gt_i32_e64 s2, s13, v0
	s_and_saveexec_b32 s3, s2
	s_cbranch_execz .LBB19_3
; %bb.1:
	s_clause 0x1
	s_load_b128 s[20:23], s[0:1], 0x8
	s_load_b32 s24, s[0:1], 0x18
	v_dual_mov_b32 v5, v0 :: v_dual_lshlrev_b32 v4, 2, v0
	s_wait_kmcnt 0x0
	s_add_nc_u64 s[8:9], s[20:21], s[18:19]
	s_sub_co_i32 s18, 1, s13
	s_load_b64 s[8:9], s[8:9], 0x0
	s_lshl_b64 s[20:21], s[22:23], 2
	s_mul_i32 s18, s24, s18
	s_cmp_lt_i32 s24, 1
	s_cselect_b32 s18, s18, 0
	s_delay_alu instid0(SALU_CYCLE_1)
	v_mad_co_u64_u32 v[1:2], null, v0, s24, s[18:19]
	s_mov_b32 s18, 0
	s_lshl_b32 s19, s24, 10
	s_wait_kmcnt 0x0
	s_add_nc_u64 s[8:9], s[8:9], s[20:21]
.LBB19_2:                               ; =>This Inner Loop Header: Depth=1
	v_ashrrev_i32_e32 v2, 31, v1
	v_add_nc_u32_e32 v5, 0x400, v5
	s_delay_alu instid0(VALU_DEP_2) | instskip(SKIP_2) | instid1(VALU_DEP_2)
	v_lshlrev_b64_e32 v[6:7], 2, v[1:2]
	s_wait_alu 0xfffe
	v_add_nc_u32_e32 v1, s19, v1
	v_add_co_u32 v6, vcc_lo, s8, v6
	s_wait_alu 0xfffd
	s_delay_alu instid0(VALU_DEP_3)
	v_add_co_ci_u32_e64 v7, null, s9, v7, vcc_lo
	v_cmp_le_i32_e32 vcc_lo, s13, v5
	flat_load_b32 v2, v[6:7]
	s_or_b32 s18, vcc_lo, s18
	s_wait_loadcnt_dscnt 0x0
	ds_store_b32 v4, v2
	v_add_nc_u32_e32 v4, 0x1000, v4
	s_wait_alu 0xfffe
	s_and_not1_b32 exec_lo, exec_lo, s18
	s_cbranch_execnz .LBB19_2
.LBB19_3:
	s_or_b32 exec_lo, exec_lo, s3
	s_cmp_ge_i32 ttmp7, s12
	s_wait_dscnt 0x0
	s_barrier_signal -1
	s_barrier_wait -1
	global_inv scope:SCOPE_SE
	s_cbranch_scc1 .LBB19_23
; %bb.4:
	s_load_b32 s9, s[0:1], 0x48
	v_dual_mov_b32 v6, 0x2004 :: v_dual_and_b32 v1, 31, v0
	v_mbcnt_lo_u32_b32 v5, -1, 0
	s_lshl_b64 s[10:11], s[10:11], 2
	s_mul_u64 s[16:17], s[6:7], s[16:17]
	v_lshrrev_b32_e32 v4, 3, v0
	v_cmp_eq_u32_e64 s0, 0, v0
	v_mov_b32_e32 v7, 0x200c
	v_dual_mov_b32 v8, 0x2014 :: v_dual_mov_b32 v23, 0
	v_mov_b32_e32 v9, 0x201c
	v_mov_b32_e32 v10, 0x2024
	;; [unrolled: 1-line block ×4, first 2 shown]
	s_wait_kmcnt 0x0
	s_add_nc_u64 s[6:7], s[14:15], s[10:11]
	s_lshl_b64 s[10:11], s[16:17], 2
	v_cmp_eq_u32_e64 s1, 0, v1
	v_lshl_or_b32 v13, v5, 2, 64
	v_mov_b32_e32 v15, 0x203c
	v_mul_lo_u32 v14, v0, s9
	v_mov_b32_e32 v16, 0x2044
	v_mov_b32_e32 v17, 0x204c
	;; [unrolled: 1-line block ×7, first 2 shown]
	s_cmp_gt_i32 s13, 1
	s_mov_b32 s8, ttmp7
	s_add_nc_u64 s[4:5], s[4:5], s[10:11]
	s_cselect_b32 s3, -1, 0
	s_lshl_b32 s14, s9, 10
	s_branch .LBB19_6
.LBB19_5:                               ;   in Loop: Header=BB19_6 Depth=1
	s_wait_alu 0xfffe
	s_or_b32 exec_lo, exec_lo, s9
	s_add_co_i32 s8, s8, 64
	s_wait_alu 0xfffe
	s_cmp_ge_i32 s8, s12
	s_cbranch_scc1 .LBB19_23
.LBB19_6:                               ; =>This Loop Header: Depth=1
                                        ;     Child Loop BB19_8 Depth 2
                                        ;     Child Loop BB19_22 Depth 2
	s_wait_alu 0xfffe
	s_ashr_i32 s9, s8, 31
	v_mov_b32_e32 v24, 0
	s_wait_alu 0xfffe
	s_lshl_b64 s[10:11], s[8:9], 2
	s_wait_alu 0xfffe
	s_add_nc_u64 s[10:11], s[6:7], s[10:11]
	s_and_saveexec_b32 s9, s2
	s_cbranch_execz .LBB19_10
; %bb.7:                                ;   in Loop: Header=BB19_6 Depth=1
	v_dual_mov_b32 v24, 0 :: v_dual_mov_b32 v1, v14
	v_dual_mov_b32 v25, v3 :: v_dual_mov_b32 v26, v0
	s_mov_b32 s15, 0
.LBB19_8:                               ;   Parent Loop BB19_6 Depth=1
                                        ; =>  This Inner Loop Header: Depth=2
	s_delay_alu instid0(VALU_DEP_2) | instskip(NEXT) | instid1(VALU_DEP_2)
	v_ashrrev_i32_e32 v2, 31, v1
	v_add_nc_u32_e32 v26, 0x400, v26
	s_delay_alu instid0(VALU_DEP_2) | instskip(SKIP_2) | instid1(VALU_DEP_2)
	v_lshlrev_b64_e32 v[27:28], 2, v[1:2]
	v_add_nc_u32_e32 v1, s14, v1
	s_wait_alu 0xfffe
	v_add_co_u32 v27, vcc_lo, s10, v27
	s_wait_alu 0xfffd
	s_delay_alu instid0(VALU_DEP_3)
	v_add_co_ci_u32_e64 v28, null, s11, v28, vcc_lo
	v_cmp_le_i32_e32 vcc_lo, s13, v26
	flat_load_b32 v2, v[27:28]
	ds_load_b32 v27, v25
	v_add_nc_u32_e32 v25, 0x1000, v25
	s_or_b32 s15, vcc_lo, s15
	s_wait_loadcnt_dscnt 0x0
	v_fmac_f32_e32 v24, v27, v2
	s_wait_alu 0xfffe
	s_and_not1_b32 exec_lo, exec_lo, s15
	s_cbranch_execnz .LBB19_8
; %bb.9:                                ;   in Loop: Header=BB19_6 Depth=1
	s_or_b32 exec_lo, exec_lo, s15
.LBB19_10:                              ;   in Loop: Header=BB19_6 Depth=1
	s_wait_alu 0xfffe
	s_or_b32 exec_lo, exec_lo, s9
	s_delay_alu instid0(SALU_CYCLE_1)
	s_and_b32 vcc_lo, exec_lo, s3
	s_wait_alu 0xfffe
	s_cbranch_vccz .LBB19_17
; %bb.11:                               ;   in Loop: Header=BB19_6 Depth=1
	v_cmp_ne_u32_e32 vcc_lo, 31, v5
	s_wait_alu 0xfffd
	v_add_co_ci_u32_e64 v1, null, 0, v5, vcc_lo
	v_cmp_gt_u32_e32 vcc_lo, 30, v5
	s_delay_alu instid0(VALU_DEP_2)
	v_lshlrev_b32_e32 v1, 2, v1
	s_wait_alu 0xfffd
	v_cndmask_b32_e64 v2, 0, 2, vcc_lo
	v_cmp_gt_u32_e32 vcc_lo, 28, v5
	ds_bpermute_b32 v1, v1, v24
	v_add_lshl_u32 v2, v2, v5, 2
	s_wait_alu 0xfffd
	v_cndmask_b32_e64 v25, 0, 4, vcc_lo
	v_cmp_gt_u32_e32 vcc_lo, 24, v5
	s_delay_alu instid0(VALU_DEP_2)
	v_add_lshl_u32 v25, v25, v5, 2
	s_wait_dscnt 0x0
	v_add_f32_e32 v1, v24, v1
	ds_bpermute_b32 v2, v2, v1
	s_wait_dscnt 0x0
	v_add_f32_e32 v1, v1, v2
	ds_bpermute_b32 v2, v25, v1
	s_wait_alu 0xfffd
	v_cndmask_b32_e64 v25, 0, 8, vcc_lo
	s_wait_dscnt 0x0
	v_add_f32_e32 v1, v1, v2
	s_delay_alu instid0(VALU_DEP_2)
	v_add_lshl_u32 v2, v25, v5, 2
	ds_bpermute_b32 v2, v2, v1
	s_wait_dscnt 0x0
	v_add_f32_e32 v1, v1, v2
	ds_bpermute_b32 v2, v13, v1
	s_wait_dscnt 0x0
	v_add_f32_e32 v1, v1, v2
	s_and_saveexec_b32 s9, s1
; %bb.12:                               ;   in Loop: Header=BB19_6 Depth=1
	ds_store_b32 v4, v1 offset:8192
; %bb.13:                               ;   in Loop: Header=BB19_6 Depth=1
	s_wait_alu 0xfffe
	s_or_b32 exec_lo, exec_lo, s9
	s_mov_b32 s15, 0
	s_mov_b32 s9, 0
	s_wait_loadcnt_dscnt 0x0
	s_barrier_signal -1
	s_barrier_wait -1
	global_inv scope:SCOPE_SE
                                        ; implicit-def: $vgpr2
	s_and_saveexec_b32 s16, s0
	s_delay_alu instid0(SALU_CYCLE_1)
	s_xor_b32 s16, exec_lo, s16
	s_cbranch_execz .LBB19_15
; %bb.14:                               ;   in Loop: Header=BB19_6 Depth=1
	ds_load_2addr_b32 v[25:26], v6 offset1:1
	ds_load_2addr_b32 v[27:28], v7 offset1:1
	;; [unrolled: 1-line block ×4, first 2 shown]
	s_mov_b32 s9, exec_lo
	s_wait_dscnt 0x3
	v_add_f32_e32 v1, v1, v25
	s_delay_alu instid0(VALU_DEP_1) | instskip(SKIP_1) | instid1(VALU_DEP_1)
	v_add_f32_e32 v1, v1, v26
	s_wait_dscnt 0x2
	v_add_f32_e32 v1, v1, v27
	s_delay_alu instid0(VALU_DEP_1) | instskip(SKIP_3) | instid1(VALU_DEP_1)
	v_add_f32_e32 v25, v1, v28
	ds_load_2addr_b32 v[1:2], v10 offset1:1
	s_wait_dscnt 0x2
	v_add_f32_e32 v25, v25, v29
	v_add_f32_e32 v27, v25, v30
	ds_load_2addr_b32 v[25:26], v11 offset1:1
	s_wait_dscnt 0x2
	v_add_f32_e32 v27, v27, v31
	s_delay_alu instid0(VALU_DEP_1) | instskip(SKIP_4) | instid1(VALU_DEP_1)
	v_add_f32_e32 v31, v27, v32
	ds_load_2addr_b32 v[27:28], v12 offset1:1
	ds_load_2addr_b32 v[29:30], v15 offset1:1
	s_wait_dscnt 0x3
	v_add_f32_e32 v1, v31, v1
	v_add_f32_e32 v1, v1, v2
	s_wait_dscnt 0x2
	s_delay_alu instid0(VALU_DEP_1) | instskip(NEXT) | instid1(VALU_DEP_1)
	v_add_f32_e32 v1, v1, v25
	v_add_f32_e32 v25, v1, v26
	ds_load_2addr_b32 v[1:2], v16 offset1:1
	s_wait_dscnt 0x2
	v_add_f32_e32 v25, v25, v27
	s_delay_alu instid0(VALU_DEP_1) | instskip(SKIP_3) | instid1(VALU_DEP_1)
	v_add_f32_e32 v27, v25, v28
	ds_load_2addr_b32 v[25:26], v17 offset1:1
	s_wait_dscnt 0x2
	v_add_f32_e32 v27, v27, v29
	v_add_f32_e32 v31, v27, v30
	ds_load_2addr_b32 v[27:28], v18 offset1:1
	ds_load_2addr_b32 v[29:30], v19 offset1:1
	s_wait_dscnt 0x3
	v_add_f32_e32 v1, v31, v1
	s_delay_alu instid0(VALU_DEP_1) | instskip(SKIP_1) | instid1(VALU_DEP_1)
	v_add_f32_e32 v1, v1, v2
	s_wait_dscnt 0x2
	v_add_f32_e32 v1, v1, v25
	s_delay_alu instid0(VALU_DEP_1) | instskip(SKIP_1) | instid1(VALU_DEP_1)
	v_add_f32_e32 v1, v1, v26
	s_wait_dscnt 0x1
	v_add_f32_e32 v25, v1, v27
	ds_load_2addr_b32 v[1:2], v20 offset1:1
	v_add_f32_e32 v25, v25, v28
	s_wait_dscnt 0x1
	s_delay_alu instid0(VALU_DEP_1)
	v_add_f32_e32 v27, v25, v29
	ds_load_2addr_b32 v[25:26], v21 offset1:1
	v_add_f32_e32 v29, v27, v30
	ds_load_2addr_b32 v[27:28], v22 offset1:1
	ds_load_b32 v30, v23 offset:8316
	s_wait_dscnt 0x3
	v_add_f32_e32 v1, v29, v1
	s_delay_alu instid0(VALU_DEP_1) | instskip(SKIP_1) | instid1(VALU_DEP_1)
	v_add_f32_e32 v1, v1, v2
	s_wait_dscnt 0x2
	v_add_f32_e32 v1, v1, v25
	s_delay_alu instid0(VALU_DEP_1) | instskip(SKIP_1) | instid1(VALU_DEP_1)
	v_add_f32_e32 v1, v1, v26
	;; [unrolled: 4-line block ×3, first 2 shown]
	s_wait_dscnt 0x0
	v_add_f32_e32 v2, v1, v30
.LBB19_15:                              ;   in Loop: Header=BB19_6 Depth=1
	s_or_b32 exec_lo, exec_lo, s16
	s_wait_alu 0xfffe
	s_and_b32 vcc_lo, exec_lo, s15
	s_wait_alu 0xfffe
	s_cbranch_vccnz .LBB19_18
.LBB19_16:                              ;   in Loop: Header=BB19_6 Depth=1
	v_mov_b32_e32 v24, v2
	s_wait_alu 0xfffe
	s_and_saveexec_b32 s15, s9
	s_cbranch_execnz .LBB19_19
	s_branch .LBB19_20
.LBB19_17:                              ;   in Loop: Header=BB19_6 Depth=1
	s_mov_b32 s9, 0
                                        ; implicit-def: $vgpr2
	s_cbranch_execz .LBB19_16
.LBB19_18:                              ;   in Loop: Header=BB19_6 Depth=1
	s_wait_alu 0xfffe
	s_and_not1_b32 s9, s9, exec_lo
	s_and_b32 s15, s0, exec_lo
	s_wait_alu 0xfffe
	s_or_b32 s9, s9, s15
	s_wait_alu 0xfffe
	s_and_saveexec_b32 s15, s9
.LBB19_19:                              ;   in Loop: Header=BB19_6 Depth=1
	ds_store_b32 v23, v24 offset:8192
.LBB19_20:                              ;   in Loop: Header=BB19_6 Depth=1
	s_wait_alu 0xfffe
	s_or_b32 exec_lo, exec_lo, s15
	s_wait_loadcnt_dscnt 0x0
	s_barrier_signal -1
	s_barrier_wait -1
	global_inv scope:SCOPE_SE
	s_and_saveexec_b32 s9, s2
	s_cbranch_execz .LBB19_5
; %bb.21:                               ;   in Loop: Header=BB19_6 Depth=1
	global_load_b32 v1, v23, s[4:5]
	ds_load_b32 v2, v23 offset:8192
	v_mov_b32_e32 v24, v3
	s_mov_b32 s15, 0
	v_mov_b32_e32 v26, v0
	s_wait_loadcnt 0x0
	v_xor_b32_e32 v25, 0x80000000, v1
	v_mov_b32_e32 v1, v14
	s_wait_dscnt 0x0
	s_delay_alu instid0(VALU_DEP_2)
	v_mul_f32_e32 v25, v2, v25
.LBB19_22:                              ;   Parent Loop BB19_6 Depth=1
                                        ; =>  This Inner Loop Header: Depth=2
	s_delay_alu instid0(VALU_DEP_2)
	v_ashrrev_i32_e32 v2, 31, v1
	ds_load_b32 v29, v24
	v_add_nc_u32_e32 v26, 0x400, v26
	v_add_nc_u32_e32 v24, 0x1000, v24
	v_lshlrev_b64_e32 v[27:28], 2, v[1:2]
	v_add_nc_u32_e32 v1, s14, v1
	s_delay_alu instid0(VALU_DEP_2) | instskip(SKIP_1) | instid1(VALU_DEP_3)
	v_add_co_u32 v27, vcc_lo, s10, v27
	s_wait_alu 0xfffd
	v_add_co_ci_u32_e64 v28, null, s11, v28, vcc_lo
	v_cmp_le_i32_e32 vcc_lo, s13, v26
	flat_load_b32 v2, v[27:28]
	s_wait_alu 0xfffe
	s_or_b32 s15, vcc_lo, s15
	s_wait_loadcnt_dscnt 0x0
	v_fmac_f32_e32 v2, v25, v29
	flat_store_b32 v[27:28], v2
	s_wait_alu 0xfffe
	s_and_not1_b32 exec_lo, exec_lo, s15
	s_cbranch_execnz .LBB19_22
	s_branch .LBB19_5
.LBB19_23:
	s_endpgm
	.section	.rodata,"a",@progbits
	.p2align	6, 0x0
	.amdhsa_kernel _ZN9rocsolver6v33100L23larf_right_kernel_smallILi1024EfiPKPfEEvT1_S5_T2_lS5_lPKT0_lS6_lS5_l
		.amdhsa_group_segment_fixed_size 8320
		.amdhsa_private_segment_fixed_size 0
		.amdhsa_kernarg_size 88
		.amdhsa_user_sgpr_count 2
		.amdhsa_user_sgpr_dispatch_ptr 0
		.amdhsa_user_sgpr_queue_ptr 0
		.amdhsa_user_sgpr_kernarg_segment_ptr 1
		.amdhsa_user_sgpr_dispatch_id 0
		.amdhsa_user_sgpr_private_segment_size 0
		.amdhsa_wavefront_size32 1
		.amdhsa_uses_dynamic_stack 0
		.amdhsa_enable_private_segment 0
		.amdhsa_system_sgpr_workgroup_id_x 1
		.amdhsa_system_sgpr_workgroup_id_y 1
		.amdhsa_system_sgpr_workgroup_id_z 0
		.amdhsa_system_sgpr_workgroup_info 0
		.amdhsa_system_vgpr_workitem_id 0
		.amdhsa_next_free_vgpr 33
		.amdhsa_next_free_sgpr 25
		.amdhsa_reserve_vcc 1
		.amdhsa_float_round_mode_32 0
		.amdhsa_float_round_mode_16_64 0
		.amdhsa_float_denorm_mode_32 3
		.amdhsa_float_denorm_mode_16_64 3
		.amdhsa_fp16_overflow 0
		.amdhsa_workgroup_processor_mode 1
		.amdhsa_memory_ordered 1
		.amdhsa_forward_progress 1
		.amdhsa_inst_pref_size 14
		.amdhsa_round_robin_scheduling 0
		.amdhsa_exception_fp_ieee_invalid_op 0
		.amdhsa_exception_fp_denorm_src 0
		.amdhsa_exception_fp_ieee_div_zero 0
		.amdhsa_exception_fp_ieee_overflow 0
		.amdhsa_exception_fp_ieee_underflow 0
		.amdhsa_exception_fp_ieee_inexact 0
		.amdhsa_exception_int_div_zero 0
	.end_amdhsa_kernel
	.section	.text._ZN9rocsolver6v33100L23larf_right_kernel_smallILi1024EfiPKPfEEvT1_S5_T2_lS5_lPKT0_lS6_lS5_l,"axG",@progbits,_ZN9rocsolver6v33100L23larf_right_kernel_smallILi1024EfiPKPfEEvT1_S5_T2_lS5_lPKT0_lS6_lS5_l,comdat
.Lfunc_end19:
	.size	_ZN9rocsolver6v33100L23larf_right_kernel_smallILi1024EfiPKPfEEvT1_S5_T2_lS5_lPKT0_lS6_lS5_l, .Lfunc_end19-_ZN9rocsolver6v33100L23larf_right_kernel_smallILi1024EfiPKPfEEvT1_S5_T2_lS5_lPKT0_lS6_lS5_l
                                        ; -- End function
	.set _ZN9rocsolver6v33100L23larf_right_kernel_smallILi1024EfiPKPfEEvT1_S5_T2_lS5_lPKT0_lS6_lS5_l.num_vgpr, 33
	.set _ZN9rocsolver6v33100L23larf_right_kernel_smallILi1024EfiPKPfEEvT1_S5_T2_lS5_lPKT0_lS6_lS5_l.num_agpr, 0
	.set _ZN9rocsolver6v33100L23larf_right_kernel_smallILi1024EfiPKPfEEvT1_S5_T2_lS5_lPKT0_lS6_lS5_l.numbered_sgpr, 25
	.set _ZN9rocsolver6v33100L23larf_right_kernel_smallILi1024EfiPKPfEEvT1_S5_T2_lS5_lPKT0_lS6_lS5_l.num_named_barrier, 0
	.set _ZN9rocsolver6v33100L23larf_right_kernel_smallILi1024EfiPKPfEEvT1_S5_T2_lS5_lPKT0_lS6_lS5_l.private_seg_size, 0
	.set _ZN9rocsolver6v33100L23larf_right_kernel_smallILi1024EfiPKPfEEvT1_S5_T2_lS5_lPKT0_lS6_lS5_l.uses_vcc, 1
	.set _ZN9rocsolver6v33100L23larf_right_kernel_smallILi1024EfiPKPfEEvT1_S5_T2_lS5_lPKT0_lS6_lS5_l.uses_flat_scratch, 0
	.set _ZN9rocsolver6v33100L23larf_right_kernel_smallILi1024EfiPKPfEEvT1_S5_T2_lS5_lPKT0_lS6_lS5_l.has_dyn_sized_stack, 0
	.set _ZN9rocsolver6v33100L23larf_right_kernel_smallILi1024EfiPKPfEEvT1_S5_T2_lS5_lPKT0_lS6_lS5_l.has_recursion, 0
	.set _ZN9rocsolver6v33100L23larf_right_kernel_smallILi1024EfiPKPfEEvT1_S5_T2_lS5_lPKT0_lS6_lS5_l.has_indirect_call, 0
	.section	.AMDGPU.csdata,"",@progbits
; Kernel info:
; codeLenInByte = 1672
; TotalNumSgprs: 27
; NumVgprs: 33
; ScratchSize: 0
; MemoryBound: 0
; FloatMode: 240
; IeeeMode: 1
; LDSByteSize: 8320 bytes/workgroup (compile time only)
; SGPRBlocks: 0
; VGPRBlocks: 4
; NumSGPRsForWavesPerEU: 27
; NumVGPRsForWavesPerEU: 33
; Occupancy: 16
; WaveLimiterHint : 1
; COMPUTE_PGM_RSRC2:SCRATCH_EN: 0
; COMPUTE_PGM_RSRC2:USER_SGPR: 2
; COMPUTE_PGM_RSRC2:TRAP_HANDLER: 0
; COMPUTE_PGM_RSRC2:TGID_X_EN: 1
; COMPUTE_PGM_RSRC2:TGID_Y_EN: 1
; COMPUTE_PGM_RSRC2:TGID_Z_EN: 0
; COMPUTE_PGM_RSRC2:TIDIG_COMP_CNT: 0
	.section	.text._ZN9rocsolver6v33100L22larf_left_kernel_smallILi64EflPfEEvT1_S3_T2_lS3_lPKT0_lS4_lS3_l,"axG",@progbits,_ZN9rocsolver6v33100L22larf_left_kernel_smallILi64EflPfEEvT1_S3_T2_lS3_lPKT0_lS4_lS3_l,comdat
	.globl	_ZN9rocsolver6v33100L22larf_left_kernel_smallILi64EflPfEEvT1_S3_T2_lS3_lPKT0_lS4_lS3_l ; -- Begin function _ZN9rocsolver6v33100L22larf_left_kernel_smallILi64EflPfEEvT1_S3_T2_lS3_lPKT0_lS4_lS3_l
	.p2align	8
	.type	_ZN9rocsolver6v33100L22larf_left_kernel_smallILi64EflPfEEvT1_S3_T2_lS3_lPKT0_lS4_lS3_l,@function
_ZN9rocsolver6v33100L22larf_left_kernel_smallILi64EflPfEEvT1_S3_T2_lS3_lPKT0_lS4_lS3_l: ; @_ZN9rocsolver6v33100L22larf_left_kernel_smallILi64EflPfEEvT1_S3_T2_lS3_lPKT0_lS4_lS3_l
; %bb.0:
	s_load_b512 s[8:23], s[0:1], 0x0
	s_mov_b32 s4, ttmp9
	s_mov_b64 s[6:7], 0
	s_wait_kmcnt 0x0
	v_cmp_gt_i64_e64 s2, s[16:17], 0
	s_and_b32 vcc_lo, exec_lo, s2
	s_cbranch_vccnz .LBB20_2
; %bb.1:
	s_sub_nc_u64 s[2:3], 1, s[8:9]
	s_delay_alu instid0(SALU_CYCLE_1)
	s_mul_u64 s[6:7], s[16:17], s[2:3]
.LBB20_2:
	v_dual_mov_b32 v1, 0 :: v_dual_lshlrev_b32 v8, 2, v0
	s_mov_b32 s5, 0
	s_delay_alu instid0(VALU_DEP_1)
	v_cmp_gt_i64_e64 s2, s[8:9], v[0:1]
	s_and_saveexec_b32 s24, s2
	s_cbranch_execz .LBB20_5
; %bb.3:
	v_mad_co_u64_u32 v[2:3], null, s16, v0, 0
	s_lshl_b64 s[14:15], s[14:15], 2
	s_mul_u64 s[18:19], s[18:19], s[4:5]
	s_lshl_b64 s[6:7], s[6:7], 2
	s_add_nc_u64 s[12:13], s[12:13], s[14:15]
	s_lshl_b64 s[14:15], s[18:19], 2
	s_add_nc_u64 s[6:7], s[12:13], s[6:7]
	v_mad_co_u64_u32 v[3:4], null, s17, v0, v[3:4]
	s_add_nc_u64 s[6:7], s[6:7], s[14:15]
	v_dual_mov_b32 v5, v1 :: v_dual_lshlrev_b32 v6, 2, v0
	v_mov_b32_e32 v4, v0
	s_mov_b32 s12, s5
	v_lshlrev_b64_e32 v[2:3], 2, v[2:3]
	s_delay_alu instid0(VALU_DEP_1) | instskip(NEXT) | instid1(VALU_DEP_1)
	v_add_co_u32 v2, vcc_lo, s6, v2
	v_add_co_ci_u32_e64 v3, null, s7, v3, vcc_lo
	s_lshl_b64 s[6:7], s[16:17], 8
.LBB20_4:                               ; =>This Inner Loop Header: Depth=1
	global_load_b32 v7, v[2:3], off
	v_add_co_u32 v4, vcc_lo, v4, 64
	s_wait_alu 0xfffd
	v_add_co_ci_u32_e64 v5, null, 0, v5, vcc_lo
	s_wait_alu 0xfffe
	v_add_co_u32 v2, vcc_lo, v2, s6
	s_wait_alu 0xfffd
	v_add_co_ci_u32_e64 v3, null, s7, v3, vcc_lo
	v_cmp_le_i64_e64 s3, s[8:9], v[4:5]
	s_or_b32 s12, s3, s12
	s_wait_loadcnt 0x0
	ds_store_b32 v6, v7
	v_add_nc_u32_e32 v6, 0x100, v6
	s_and_not1_b32 exec_lo, exec_lo, s12
	s_cbranch_execnz .LBB20_4
.LBB20_5:
	s_or_b32 exec_lo, exec_lo, s24
	s_mov_b32 s6, ttmp7
	s_mov_b32 s7, 0
	s_wait_dscnt 0x0
	s_wait_alu 0xfffe
	v_cmp_le_i64_e64 s3, s[10:11], s[6:7]
	s_barrier_signal -1
	s_barrier_wait -1
	global_inv scope:SCOPE_SE
	s_and_b32 vcc_lo, exec_lo, s3
	s_wait_alu 0xfffe
	s_cbranch_vccnz .LBB20_25
; %bb.6:
	s_load_b256 s[12:19], s[0:1], 0x40
	s_mul_u64 s[22:23], s[22:23], s[4:5]
	v_and_b32_e32 v2, 31, v0
	s_lshl_b64 s[24:25], s[22:23], 2
	s_cmp_gt_i32 s8, 1
	v_dual_mov_b32 v10, 0 :: v_dual_lshlrev_b32 v3, 2, v0
	s_cselect_b32 s22, -1, 0
	v_mbcnt_lo_u32_b32 v11, -1, 0
	v_cmp_eq_u32_e64 s3, 0, v2
	v_cmp_gt_i32_e64 s0, s8, v0
	v_lshrrev_b32_e32 v9, 3, v0
	v_cmp_eq_u32_e64 s1, 0, v0
	v_lshl_or_b32 v12, v11, 2, 64
	s_wait_kmcnt 0x0
	s_mul_u64 s[4:5], s[18:19], s[4:5]
	s_mul_u64 s[18:19], s[16:17], s[6:7]
	s_lshl_b64 s[4:5], s[4:5], 2
	s_lshl_b64 s[18:19], s[18:19], 2
	;; [unrolled: 1-line block ×3, first 2 shown]
	s_add_nc_u64 s[4:5], s[4:5], s[18:19]
	s_delay_alu instid0(SALU_CYCLE_1)
	s_add_nc_u64 s[4:5], s[4:5], s[14:15]
	s_lshl_b64 s[14:15], s[16:17], 8
	s_add_nc_u64 s[4:5], s[12:13], s[4:5]
	s_add_nc_u64 s[12:13], s[20:21], s[24:25]
	v_add_co_u32 v2, s4, s4, v3
	s_wait_alu 0xf1ff
	v_add_co_ci_u32_e64 v3, null, s5, 0, s4
	s_branch .LBB20_8
.LBB20_7:                               ;   in Loop: Header=BB20_8 Depth=1
	s_wait_alu 0xfffe
	s_or_b32 exec_lo, exec_lo, s5
	s_add_nc_u64 s[6:7], s[6:7], 64
	v_add_co_u32 v2, vcc_lo, v2, s14
	s_wait_alu 0xfffe
	v_cmp_ge_i64_e64 s4, s[6:7], s[10:11]
	s_wait_alu 0xfffd
	v_add_co_ci_u32_e64 v3, null, s15, v3, vcc_lo
	s_and_b32 vcc_lo, exec_lo, s4
	s_wait_alu 0xfffe
	s_cbranch_vccnz .LBB20_25
.LBB20_8:                               ; =>This Loop Header: Depth=1
                                        ;     Child Loop BB20_10 Depth 2
                                        ;     Child Loop BB20_24 Depth 2
	v_mov_b32_e32 v6, 0
	s_and_saveexec_b32 s5, s0
	s_cbranch_execz .LBB20_12
; %bb.9:                                ;   in Loop: Header=BB20_8 Depth=1
	v_dual_mov_b32 v6, 0 :: v_dual_mov_b32 v5, v3
	v_dual_mov_b32 v4, v2 :: v_dual_mov_b32 v7, v8
	v_mov_b32_e32 v13, v0
	s_mov_b32 s16, 0
.LBB20_10:                              ;   Parent Loop BB20_8 Depth=1
                                        ; =>  This Inner Loop Header: Depth=2
	global_load_b32 v14, v[4:5], off
	ds_load_b32 v15, v7
	v_add_nc_u32_e32 v13, 64, v13
	v_add_co_u32 v4, vcc_lo, 0x100, v4
	v_add_nc_u32_e32 v7, 0x100, v7
	s_wait_alu 0xfffd
	v_add_co_ci_u32_e64 v5, null, 0, v5, vcc_lo
	s_wait_loadcnt_dscnt 0x0
	v_fmac_f32_e32 v6, v15, v14
	v_cmp_le_i32_e64 s4, s8, v13
	s_wait_alu 0xfffe
	s_or_b32 s16, s4, s16
	s_wait_alu 0xfffe
	s_and_not1_b32 exec_lo, exec_lo, s16
	s_cbranch_execnz .LBB20_10
; %bb.11:                               ;   in Loop: Header=BB20_8 Depth=1
	s_or_b32 exec_lo, exec_lo, s16
.LBB20_12:                              ;   in Loop: Header=BB20_8 Depth=1
	s_wait_alu 0xfffe
	s_or_b32 exec_lo, exec_lo, s5
	s_delay_alu instid0(SALU_CYCLE_1)
	s_and_b32 vcc_lo, exec_lo, s22
	s_wait_alu 0xfffe
	s_cbranch_vccz .LBB20_19
; %bb.13:                               ;   in Loop: Header=BB20_8 Depth=1
	v_cmp_ne_u32_e32 vcc_lo, 31, v11
	s_wait_alu 0xfffd
	v_add_co_ci_u32_e64 v4, null, 0, v11, vcc_lo
	v_cmp_gt_u32_e32 vcc_lo, 30, v11
	s_delay_alu instid0(VALU_DEP_2)
	v_lshlrev_b32_e32 v4, 2, v4
	s_wait_alu 0xfffd
	v_cndmask_b32_e64 v5, 0, 2, vcc_lo
	v_cmp_gt_u32_e32 vcc_lo, 28, v11
	ds_bpermute_b32 v4, v4, v6
	v_add_lshl_u32 v5, v5, v11, 2
	s_wait_alu 0xfffd
	v_cndmask_b32_e64 v7, 0, 4, vcc_lo
	v_cmp_gt_u32_e32 vcc_lo, 24, v11
	s_delay_alu instid0(VALU_DEP_2)
	v_add_lshl_u32 v7, v7, v11, 2
	s_wait_dscnt 0x0
	v_add_f32_e32 v4, v6, v4
	ds_bpermute_b32 v5, v5, v4
	s_wait_dscnt 0x0
	v_add_f32_e32 v4, v4, v5
	ds_bpermute_b32 v5, v7, v4
	s_wait_alu 0xfffd
	v_cndmask_b32_e64 v7, 0, 8, vcc_lo
	s_wait_dscnt 0x0
	v_add_f32_e32 v4, v4, v5
	s_delay_alu instid0(VALU_DEP_2)
	v_add_lshl_u32 v5, v7, v11, 2
	ds_bpermute_b32 v5, v5, v4
	s_wait_dscnt 0x0
	v_add_f32_e32 v4, v4, v5
	ds_bpermute_b32 v5, v12, v4
	s_wait_dscnt 0x0
	v_add_f32_e32 v5, v4, v5
	s_and_saveexec_b32 s4, s3
; %bb.14:                               ;   in Loop: Header=BB20_8 Depth=1
	ds_store_b32 v9, v5 offset:8192
; %bb.15:                               ;   in Loop: Header=BB20_8 Depth=1
	s_wait_alu 0xfffe
	s_or_b32 exec_lo, exec_lo, s4
	s_mov_b32 s5, 0
	s_mov_b32 s4, 0
	s_wait_loadcnt_dscnt 0x0
	s_barrier_signal -1
	s_barrier_wait -1
	global_inv scope:SCOPE_SE
                                        ; implicit-def: $vgpr4
	s_and_saveexec_b32 s16, s1
	s_wait_alu 0xfffe
	s_xor_b32 s16, exec_lo, s16
	s_cbranch_execz .LBB20_17
; %bb.16:                               ;   in Loop: Header=BB20_8 Depth=1
	ds_load_b32 v4, v10 offset:8196
	s_mov_b32 s4, exec_lo
	s_wait_dscnt 0x0
	v_add_f32_e32 v4, v5, v4
.LBB20_17:                              ;   in Loop: Header=BB20_8 Depth=1
	s_wait_alu 0xfffe
	s_or_b32 exec_lo, exec_lo, s16
	s_delay_alu instid0(SALU_CYCLE_1)
	s_and_b32 vcc_lo, exec_lo, s5
	s_wait_alu 0xfffe
	s_cbranch_vccnz .LBB20_20
.LBB20_18:                              ;   in Loop: Header=BB20_8 Depth=1
	v_mov_b32_e32 v6, v4
	s_wait_alu 0xfffe
	s_and_saveexec_b32 s5, s4
	s_cbranch_execnz .LBB20_21
	s_branch .LBB20_22
.LBB20_19:                              ;   in Loop: Header=BB20_8 Depth=1
	s_mov_b32 s4, 0
                                        ; implicit-def: $vgpr4
	s_cbranch_execz .LBB20_18
.LBB20_20:                              ;   in Loop: Header=BB20_8 Depth=1
	s_wait_alu 0xfffe
	s_and_not1_b32 s4, s4, exec_lo
	s_and_b32 s5, s1, exec_lo
	s_wait_alu 0xfffe
	s_or_b32 s4, s4, s5
	s_wait_alu 0xfffe
	s_and_saveexec_b32 s5, s4
.LBB20_21:                              ;   in Loop: Header=BB20_8 Depth=1
	ds_store_b32 v10, v6 offset:8192
.LBB20_22:                              ;   in Loop: Header=BB20_8 Depth=1
	s_wait_alu 0xfffe
	s_or_b32 exec_lo, exec_lo, s5
	s_wait_loadcnt_dscnt 0x0
	s_barrier_signal -1
	s_barrier_wait -1
	global_inv scope:SCOPE_SE
	s_and_saveexec_b32 s5, s2
	s_cbranch_execz .LBB20_7
; %bb.23:                               ;   in Loop: Header=BB20_8 Depth=1
	global_load_b32 v4, v10, s[12:13]
	ds_load_b32 v6, v10 offset:8192
	s_mov_b32 s16, 0
	s_wait_loadcnt 0x0
	v_xor_b32_e32 v7, 0x80000000, v4
	v_dual_mov_b32 v5, v3 :: v_dual_mov_b32 v4, v2
	s_wait_dscnt 0x0
	s_delay_alu instid0(VALU_DEP_2)
	v_dual_mov_b32 v13, v8 :: v_dual_mul_f32 v14, v6, v7
	v_dual_mov_b32 v7, v1 :: v_dual_mov_b32 v6, v0
.LBB20_24:                              ;   Parent Loop BB20_8 Depth=1
                                        ; =>  This Inner Loop Header: Depth=2
	global_load_b32 v15, v[4:5], off
	ds_load_b32 v16, v13
	v_add_co_u32 v6, vcc_lo, v6, 64
	s_wait_alu 0xfffd
	v_add_co_ci_u32_e64 v7, null, 0, v7, vcc_lo
	v_add_nc_u32_e32 v13, 0x100, v13
	s_delay_alu instid0(VALU_DEP_2)
	v_cmp_le_i64_e32 vcc_lo, s[8:9], v[6:7]
	s_wait_alu 0xfffe
	s_or_b32 s16, vcc_lo, s16
	s_wait_loadcnt_dscnt 0x0
	v_fmac_f32_e32 v15, v14, v16
	global_store_b32 v[4:5], v15, off
	v_add_co_u32 v4, s4, 0x100, v4
	s_wait_alu 0xf1ff
	v_add_co_ci_u32_e64 v5, null, 0, v5, s4
	s_wait_alu 0xfffe
	s_and_not1_b32 exec_lo, exec_lo, s16
	s_cbranch_execnz .LBB20_24
	s_branch .LBB20_7
.LBB20_25:
	s_endpgm
	.section	.rodata,"a",@progbits
	.p2align	6, 0x0
	.amdhsa_kernel _ZN9rocsolver6v33100L22larf_left_kernel_smallILi64EflPfEEvT1_S3_T2_lS3_lPKT0_lS4_lS3_l
		.amdhsa_group_segment_fixed_size 8448
		.amdhsa_private_segment_fixed_size 0
		.amdhsa_kernarg_size 96
		.amdhsa_user_sgpr_count 2
		.amdhsa_user_sgpr_dispatch_ptr 0
		.amdhsa_user_sgpr_queue_ptr 0
		.amdhsa_user_sgpr_kernarg_segment_ptr 1
		.amdhsa_user_sgpr_dispatch_id 0
		.amdhsa_user_sgpr_private_segment_size 0
		.amdhsa_wavefront_size32 1
		.amdhsa_uses_dynamic_stack 0
		.amdhsa_enable_private_segment 0
		.amdhsa_system_sgpr_workgroup_id_x 1
		.amdhsa_system_sgpr_workgroup_id_y 1
		.amdhsa_system_sgpr_workgroup_id_z 0
		.amdhsa_system_sgpr_workgroup_info 0
		.amdhsa_system_vgpr_workitem_id 0
		.amdhsa_next_free_vgpr 169
		.amdhsa_next_free_sgpr 26
		.amdhsa_reserve_vcc 1
		.amdhsa_float_round_mode_32 0
		.amdhsa_float_round_mode_16_64 0
		.amdhsa_float_denorm_mode_32 3
		.amdhsa_float_denorm_mode_16_64 3
		.amdhsa_fp16_overflow 0
		.amdhsa_workgroup_processor_mode 1
		.amdhsa_memory_ordered 1
		.amdhsa_forward_progress 1
		.amdhsa_inst_pref_size 11
		.amdhsa_round_robin_scheduling 0
		.amdhsa_exception_fp_ieee_invalid_op 0
		.amdhsa_exception_fp_denorm_src 0
		.amdhsa_exception_fp_ieee_div_zero 0
		.amdhsa_exception_fp_ieee_overflow 0
		.amdhsa_exception_fp_ieee_underflow 0
		.amdhsa_exception_fp_ieee_inexact 0
		.amdhsa_exception_int_div_zero 0
	.end_amdhsa_kernel
	.section	.text._ZN9rocsolver6v33100L22larf_left_kernel_smallILi64EflPfEEvT1_S3_T2_lS3_lPKT0_lS4_lS3_l,"axG",@progbits,_ZN9rocsolver6v33100L22larf_left_kernel_smallILi64EflPfEEvT1_S3_T2_lS3_lPKT0_lS4_lS3_l,comdat
.Lfunc_end20:
	.size	_ZN9rocsolver6v33100L22larf_left_kernel_smallILi64EflPfEEvT1_S3_T2_lS3_lPKT0_lS4_lS3_l, .Lfunc_end20-_ZN9rocsolver6v33100L22larf_left_kernel_smallILi64EflPfEEvT1_S3_T2_lS3_lPKT0_lS4_lS3_l
                                        ; -- End function
	.set _ZN9rocsolver6v33100L22larf_left_kernel_smallILi64EflPfEEvT1_S3_T2_lS3_lPKT0_lS4_lS3_l.num_vgpr, 17
	.set _ZN9rocsolver6v33100L22larf_left_kernel_smallILi64EflPfEEvT1_S3_T2_lS3_lPKT0_lS4_lS3_l.num_agpr, 0
	.set _ZN9rocsolver6v33100L22larf_left_kernel_smallILi64EflPfEEvT1_S3_T2_lS3_lPKT0_lS4_lS3_l.numbered_sgpr, 26
	.set _ZN9rocsolver6v33100L22larf_left_kernel_smallILi64EflPfEEvT1_S3_T2_lS3_lPKT0_lS4_lS3_l.num_named_barrier, 0
	.set _ZN9rocsolver6v33100L22larf_left_kernel_smallILi64EflPfEEvT1_S3_T2_lS3_lPKT0_lS4_lS3_l.private_seg_size, 0
	.set _ZN9rocsolver6v33100L22larf_left_kernel_smallILi64EflPfEEvT1_S3_T2_lS3_lPKT0_lS4_lS3_l.uses_vcc, 1
	.set _ZN9rocsolver6v33100L22larf_left_kernel_smallILi64EflPfEEvT1_S3_T2_lS3_lPKT0_lS4_lS3_l.uses_flat_scratch, 0
	.set _ZN9rocsolver6v33100L22larf_left_kernel_smallILi64EflPfEEvT1_S3_T2_lS3_lPKT0_lS4_lS3_l.has_dyn_sized_stack, 0
	.set _ZN9rocsolver6v33100L22larf_left_kernel_smallILi64EflPfEEvT1_S3_T2_lS3_lPKT0_lS4_lS3_l.has_recursion, 0
	.set _ZN9rocsolver6v33100L22larf_left_kernel_smallILi64EflPfEEvT1_S3_T2_lS3_lPKT0_lS4_lS3_l.has_indirect_call, 0
	.section	.AMDGPU.csdata,"",@progbits
; Kernel info:
; codeLenInByte = 1284
; TotalNumSgprs: 28
; NumVgprs: 17
; ScratchSize: 0
; MemoryBound: 0
; FloatMode: 240
; IeeeMode: 1
; LDSByteSize: 8448 bytes/workgroup (compile time only)
; SGPRBlocks: 0
; VGPRBlocks: 21
; NumSGPRsForWavesPerEU: 28
; NumVGPRsForWavesPerEU: 169
; Occupancy: 8
; WaveLimiterHint : 0
; COMPUTE_PGM_RSRC2:SCRATCH_EN: 0
; COMPUTE_PGM_RSRC2:USER_SGPR: 2
; COMPUTE_PGM_RSRC2:TRAP_HANDLER: 0
; COMPUTE_PGM_RSRC2:TGID_X_EN: 1
; COMPUTE_PGM_RSRC2:TGID_Y_EN: 1
; COMPUTE_PGM_RSRC2:TGID_Z_EN: 0
; COMPUTE_PGM_RSRC2:TIDIG_COMP_CNT: 0
	.section	.text._ZN9rocsolver6v33100L22larf_left_kernel_smallILi128EflPfEEvT1_S3_T2_lS3_lPKT0_lS4_lS3_l,"axG",@progbits,_ZN9rocsolver6v33100L22larf_left_kernel_smallILi128EflPfEEvT1_S3_T2_lS3_lPKT0_lS4_lS3_l,comdat
	.globl	_ZN9rocsolver6v33100L22larf_left_kernel_smallILi128EflPfEEvT1_S3_T2_lS3_lPKT0_lS4_lS3_l ; -- Begin function _ZN9rocsolver6v33100L22larf_left_kernel_smallILi128EflPfEEvT1_S3_T2_lS3_lPKT0_lS4_lS3_l
	.p2align	8
	.type	_ZN9rocsolver6v33100L22larf_left_kernel_smallILi128EflPfEEvT1_S3_T2_lS3_lPKT0_lS4_lS3_l,@function
_ZN9rocsolver6v33100L22larf_left_kernel_smallILi128EflPfEEvT1_S3_T2_lS3_lPKT0_lS4_lS3_l: ; @_ZN9rocsolver6v33100L22larf_left_kernel_smallILi128EflPfEEvT1_S3_T2_lS3_lPKT0_lS4_lS3_l
; %bb.0:
	s_load_b512 s[8:23], s[0:1], 0x0
	s_mov_b32 s4, ttmp9
	s_mov_b64 s[6:7], 0
	s_wait_kmcnt 0x0
	v_cmp_gt_i64_e64 s2, s[16:17], 0
	s_and_b32 vcc_lo, exec_lo, s2
	s_cbranch_vccnz .LBB21_2
; %bb.1:
	s_sub_nc_u64 s[2:3], 1, s[8:9]
	s_delay_alu instid0(SALU_CYCLE_1)
	s_mul_u64 s[6:7], s[16:17], s[2:3]
.LBB21_2:
	v_dual_mov_b32 v1, 0 :: v_dual_lshlrev_b32 v8, 2, v0
	s_mov_b32 s5, 0
	s_delay_alu instid0(VALU_DEP_1)
	v_cmp_gt_i64_e64 s2, s[8:9], v[0:1]
	s_and_saveexec_b32 s24, s2
	s_cbranch_execz .LBB21_5
; %bb.3:
	v_mad_co_u64_u32 v[2:3], null, s16, v0, 0
	s_lshl_b64 s[14:15], s[14:15], 2
	s_mul_u64 s[18:19], s[18:19], s[4:5]
	s_lshl_b64 s[6:7], s[6:7], 2
	s_add_nc_u64 s[12:13], s[12:13], s[14:15]
	s_lshl_b64 s[14:15], s[18:19], 2
	s_add_nc_u64 s[6:7], s[12:13], s[6:7]
	v_mad_co_u64_u32 v[3:4], null, s17, v0, v[3:4]
	s_add_nc_u64 s[6:7], s[6:7], s[14:15]
	v_dual_mov_b32 v5, v1 :: v_dual_lshlrev_b32 v6, 2, v0
	v_mov_b32_e32 v4, v0
	s_mov_b32 s12, s5
	v_lshlrev_b64_e32 v[2:3], 2, v[2:3]
	s_delay_alu instid0(VALU_DEP_1) | instskip(NEXT) | instid1(VALU_DEP_1)
	v_add_co_u32 v2, vcc_lo, s6, v2
	v_add_co_ci_u32_e64 v3, null, s7, v3, vcc_lo
	s_lshl_b64 s[6:7], s[16:17], 9
.LBB21_4:                               ; =>This Inner Loop Header: Depth=1
	global_load_b32 v7, v[2:3], off
	v_add_co_u32 v4, vcc_lo, 0x80, v4
	s_wait_alu 0xfffd
	v_add_co_ci_u32_e64 v5, null, 0, v5, vcc_lo
	s_wait_alu 0xfffe
	v_add_co_u32 v2, vcc_lo, v2, s6
	s_wait_alu 0xfffd
	v_add_co_ci_u32_e64 v3, null, s7, v3, vcc_lo
	v_cmp_le_i64_e64 s3, s[8:9], v[4:5]
	s_or_b32 s12, s3, s12
	s_wait_loadcnt 0x0
	ds_store_b32 v6, v7
	v_add_nc_u32_e32 v6, 0x200, v6
	s_and_not1_b32 exec_lo, exec_lo, s12
	s_cbranch_execnz .LBB21_4
.LBB21_5:
	s_or_b32 exec_lo, exec_lo, s24
	s_mov_b32 s6, ttmp7
	s_mov_b32 s7, 0
	s_wait_dscnt 0x0
	s_wait_alu 0xfffe
	v_cmp_le_i64_e64 s3, s[10:11], s[6:7]
	s_barrier_signal -1
	s_barrier_wait -1
	global_inv scope:SCOPE_SE
	s_and_b32 vcc_lo, exec_lo, s3
	s_wait_alu 0xfffe
	s_cbranch_vccnz .LBB21_25
; %bb.6:
	s_load_b256 s[12:19], s[0:1], 0x40
	s_mul_u64 s[22:23], s[22:23], s[4:5]
	v_dual_mov_b32 v13, 0x2004 :: v_dual_and_b32 v2, 31, v0
	s_lshl_b64 s[24:25], s[22:23], 2
	s_cmp_gt_i32 s8, 1
	v_dual_mov_b32 v10, 0 :: v_dual_lshlrev_b32 v3, 2, v0
	s_cselect_b32 s22, -1, 0
	v_mbcnt_lo_u32_b32 v11, -1, 0
	v_cmp_eq_u32_e64 s3, 0, v2
	v_cmp_gt_i32_e64 s0, s8, v0
	v_lshrrev_b32_e32 v9, 3, v0
	v_cmp_eq_u32_e64 s1, 0, v0
	v_lshl_or_b32 v12, v11, 2, 64
	s_wait_kmcnt 0x0
	s_mul_u64 s[4:5], s[18:19], s[4:5]
	s_mul_u64 s[18:19], s[16:17], s[6:7]
	s_lshl_b64 s[4:5], s[4:5], 2
	s_lshl_b64 s[18:19], s[18:19], 2
	;; [unrolled: 1-line block ×3, first 2 shown]
	s_add_nc_u64 s[4:5], s[4:5], s[18:19]
	s_delay_alu instid0(SALU_CYCLE_1)
	s_add_nc_u64 s[4:5], s[4:5], s[14:15]
	s_lshl_b64 s[14:15], s[16:17], 8
	s_add_nc_u64 s[4:5], s[12:13], s[4:5]
	s_add_nc_u64 s[12:13], s[20:21], s[24:25]
	v_add_co_u32 v2, s4, s4, v3
	s_wait_alu 0xf1ff
	v_add_co_ci_u32_e64 v3, null, s5, 0, s4
	s_branch .LBB21_8
.LBB21_7:                               ;   in Loop: Header=BB21_8 Depth=1
	s_wait_alu 0xfffe
	s_or_b32 exec_lo, exec_lo, s5
	s_add_nc_u64 s[6:7], s[6:7], 64
	v_add_co_u32 v2, vcc_lo, v2, s14
	s_wait_alu 0xfffe
	v_cmp_ge_i64_e64 s4, s[6:7], s[10:11]
	s_wait_alu 0xfffd
	v_add_co_ci_u32_e64 v3, null, s15, v3, vcc_lo
	s_and_b32 vcc_lo, exec_lo, s4
	s_wait_alu 0xfffe
	s_cbranch_vccnz .LBB21_25
.LBB21_8:                               ; =>This Loop Header: Depth=1
                                        ;     Child Loop BB21_10 Depth 2
                                        ;     Child Loop BB21_24 Depth 2
	v_mov_b32_e32 v6, 0
	s_and_saveexec_b32 s5, s0
	s_cbranch_execz .LBB21_12
; %bb.9:                                ;   in Loop: Header=BB21_8 Depth=1
	v_dual_mov_b32 v6, 0 :: v_dual_mov_b32 v5, v3
	v_dual_mov_b32 v4, v2 :: v_dual_mov_b32 v7, v8
	v_mov_b32_e32 v14, v0
	s_mov_b32 s16, 0
.LBB21_10:                              ;   Parent Loop BB21_8 Depth=1
                                        ; =>  This Inner Loop Header: Depth=2
	global_load_b32 v15, v[4:5], off
	ds_load_b32 v16, v7
	v_add_nc_u32_e32 v14, 0x80, v14
	v_add_co_u32 v4, vcc_lo, 0x200, v4
	v_add_nc_u32_e32 v7, 0x200, v7
	s_wait_alu 0xfffd
	v_add_co_ci_u32_e64 v5, null, 0, v5, vcc_lo
	v_cmp_le_i32_e64 s4, s8, v14
	s_wait_alu 0xfffe
	s_or_b32 s16, s4, s16
	s_wait_loadcnt_dscnt 0x0
	v_fmac_f32_e32 v6, v16, v15
	s_wait_alu 0xfffe
	s_and_not1_b32 exec_lo, exec_lo, s16
	s_cbranch_execnz .LBB21_10
; %bb.11:                               ;   in Loop: Header=BB21_8 Depth=1
	s_or_b32 exec_lo, exec_lo, s16
.LBB21_12:                              ;   in Loop: Header=BB21_8 Depth=1
	s_wait_alu 0xfffe
	s_or_b32 exec_lo, exec_lo, s5
	s_delay_alu instid0(SALU_CYCLE_1)
	s_and_b32 vcc_lo, exec_lo, s22
	s_wait_alu 0xfffe
	s_cbranch_vccz .LBB21_19
; %bb.13:                               ;   in Loop: Header=BB21_8 Depth=1
	v_cmp_ne_u32_e32 vcc_lo, 31, v11
	s_wait_alu 0xfffd
	v_add_co_ci_u32_e64 v4, null, 0, v11, vcc_lo
	v_cmp_gt_u32_e32 vcc_lo, 30, v11
	s_delay_alu instid0(VALU_DEP_2)
	v_lshlrev_b32_e32 v4, 2, v4
	s_wait_alu 0xfffd
	v_cndmask_b32_e64 v5, 0, 2, vcc_lo
	v_cmp_gt_u32_e32 vcc_lo, 28, v11
	ds_bpermute_b32 v4, v4, v6
	v_add_lshl_u32 v5, v5, v11, 2
	s_wait_alu 0xfffd
	v_cndmask_b32_e64 v7, 0, 4, vcc_lo
	v_cmp_gt_u32_e32 vcc_lo, 24, v11
	s_delay_alu instid0(VALU_DEP_2)
	v_add_lshl_u32 v7, v7, v11, 2
	s_wait_dscnt 0x0
	v_add_f32_e32 v4, v6, v4
	ds_bpermute_b32 v5, v5, v4
	s_wait_dscnt 0x0
	v_add_f32_e32 v4, v4, v5
	ds_bpermute_b32 v5, v7, v4
	s_wait_alu 0xfffd
	v_cndmask_b32_e64 v7, 0, 8, vcc_lo
	s_wait_dscnt 0x0
	v_add_f32_e32 v4, v4, v5
	s_delay_alu instid0(VALU_DEP_2)
	v_add_lshl_u32 v5, v7, v11, 2
	ds_bpermute_b32 v5, v5, v4
	s_wait_dscnt 0x0
	v_add_f32_e32 v4, v4, v5
	ds_bpermute_b32 v5, v12, v4
	s_wait_dscnt 0x0
	v_add_f32_e32 v5, v4, v5
	s_and_saveexec_b32 s4, s3
; %bb.14:                               ;   in Loop: Header=BB21_8 Depth=1
	ds_store_b32 v9, v5 offset:8192
; %bb.15:                               ;   in Loop: Header=BB21_8 Depth=1
	s_wait_alu 0xfffe
	s_or_b32 exec_lo, exec_lo, s4
	s_mov_b32 s5, 0
	s_mov_b32 s4, 0
	s_wait_loadcnt_dscnt 0x0
	s_barrier_signal -1
	s_barrier_wait -1
	global_inv scope:SCOPE_SE
                                        ; implicit-def: $vgpr4
	s_and_saveexec_b32 s16, s1
	s_wait_alu 0xfffe
	s_xor_b32 s16, exec_lo, s16
	s_cbranch_execz .LBB21_17
; %bb.16:                               ;   in Loop: Header=BB21_8 Depth=1
	ds_load_2addr_b32 v[14:15], v13 offset1:1
	ds_load_b32 v4, v10 offset:8204
	s_mov_b32 s4, exec_lo
	s_wait_dscnt 0x1
	v_add_f32_e32 v5, v5, v14
	s_delay_alu instid0(VALU_DEP_1) | instskip(SKIP_1) | instid1(VALU_DEP_1)
	v_add_f32_e32 v5, v5, v15
	s_wait_dscnt 0x0
	v_add_f32_e32 v4, v5, v4
.LBB21_17:                              ;   in Loop: Header=BB21_8 Depth=1
	s_wait_alu 0xfffe
	s_or_b32 exec_lo, exec_lo, s16
	s_delay_alu instid0(SALU_CYCLE_1)
	s_and_b32 vcc_lo, exec_lo, s5
	s_wait_alu 0xfffe
	s_cbranch_vccnz .LBB21_20
.LBB21_18:                              ;   in Loop: Header=BB21_8 Depth=1
	v_mov_b32_e32 v6, v4
	s_wait_alu 0xfffe
	s_and_saveexec_b32 s5, s4
	s_cbranch_execnz .LBB21_21
	s_branch .LBB21_22
.LBB21_19:                              ;   in Loop: Header=BB21_8 Depth=1
	s_mov_b32 s4, 0
                                        ; implicit-def: $vgpr4
	s_cbranch_execz .LBB21_18
.LBB21_20:                              ;   in Loop: Header=BB21_8 Depth=1
	s_wait_alu 0xfffe
	s_and_not1_b32 s4, s4, exec_lo
	s_and_b32 s5, s1, exec_lo
	s_wait_alu 0xfffe
	s_or_b32 s4, s4, s5
	s_wait_alu 0xfffe
	s_and_saveexec_b32 s5, s4
.LBB21_21:                              ;   in Loop: Header=BB21_8 Depth=1
	ds_store_b32 v10, v6 offset:8192
.LBB21_22:                              ;   in Loop: Header=BB21_8 Depth=1
	s_wait_alu 0xfffe
	s_or_b32 exec_lo, exec_lo, s5
	s_wait_loadcnt_dscnt 0x0
	s_barrier_signal -1
	s_barrier_wait -1
	global_inv scope:SCOPE_SE
	s_and_saveexec_b32 s5, s2
	s_cbranch_execz .LBB21_7
; %bb.23:                               ;   in Loop: Header=BB21_8 Depth=1
	global_load_b32 v4, v10, s[12:13]
	ds_load_b32 v6, v10 offset:8192
	s_mov_b32 s16, 0
	s_wait_loadcnt 0x0
	v_xor_b32_e32 v7, 0x80000000, v4
	v_dual_mov_b32 v5, v3 :: v_dual_mov_b32 v4, v2
	s_wait_dscnt 0x0
	s_delay_alu instid0(VALU_DEP_2)
	v_dual_mov_b32 v14, v8 :: v_dual_mul_f32 v15, v6, v7
	v_dual_mov_b32 v7, v1 :: v_dual_mov_b32 v6, v0
.LBB21_24:                              ;   Parent Loop BB21_8 Depth=1
                                        ; =>  This Inner Loop Header: Depth=2
	global_load_b32 v16, v[4:5], off
	ds_load_b32 v17, v14
	v_add_co_u32 v6, vcc_lo, 0x80, v6
	s_wait_alu 0xfffd
	v_add_co_ci_u32_e64 v7, null, 0, v7, vcc_lo
	v_add_nc_u32_e32 v14, 0x200, v14
	s_delay_alu instid0(VALU_DEP_2)
	v_cmp_le_i64_e32 vcc_lo, s[8:9], v[6:7]
	s_wait_alu 0xfffe
	s_or_b32 s16, vcc_lo, s16
	s_wait_loadcnt_dscnt 0x0
	v_fmac_f32_e32 v16, v15, v17
	global_store_b32 v[4:5], v16, off
	v_add_co_u32 v4, s4, 0x200, v4
	s_wait_alu 0xf1ff
	v_add_co_ci_u32_e64 v5, null, 0, v5, s4
	s_wait_alu 0xfffe
	s_and_not1_b32 exec_lo, exec_lo, s16
	s_cbranch_execnz .LBB21_24
	s_branch .LBB21_7
.LBB21_25:
	s_endpgm
	.section	.rodata,"a",@progbits
	.p2align	6, 0x0
	.amdhsa_kernel _ZN9rocsolver6v33100L22larf_left_kernel_smallILi128EflPfEEvT1_S3_T2_lS3_lPKT0_lS4_lS3_l
		.amdhsa_group_segment_fixed_size 8704
		.amdhsa_private_segment_fixed_size 0
		.amdhsa_kernarg_size 96
		.amdhsa_user_sgpr_count 2
		.amdhsa_user_sgpr_dispatch_ptr 0
		.amdhsa_user_sgpr_queue_ptr 0
		.amdhsa_user_sgpr_kernarg_segment_ptr 1
		.amdhsa_user_sgpr_dispatch_id 0
		.amdhsa_user_sgpr_private_segment_size 0
		.amdhsa_wavefront_size32 1
		.amdhsa_uses_dynamic_stack 0
		.amdhsa_enable_private_segment 0
		.amdhsa_system_sgpr_workgroup_id_x 1
		.amdhsa_system_sgpr_workgroup_id_y 1
		.amdhsa_system_sgpr_workgroup_id_z 0
		.amdhsa_system_sgpr_workgroup_info 0
		.amdhsa_system_vgpr_workitem_id 0
		.amdhsa_next_free_vgpr 18
		.amdhsa_next_free_sgpr 26
		.amdhsa_reserve_vcc 1
		.amdhsa_float_round_mode_32 0
		.amdhsa_float_round_mode_16_64 0
		.amdhsa_float_denorm_mode_32 3
		.amdhsa_float_denorm_mode_16_64 3
		.amdhsa_fp16_overflow 0
		.amdhsa_workgroup_processor_mode 1
		.amdhsa_memory_ordered 1
		.amdhsa_forward_progress 1
		.amdhsa_inst_pref_size 11
		.amdhsa_round_robin_scheduling 0
		.amdhsa_exception_fp_ieee_invalid_op 0
		.amdhsa_exception_fp_denorm_src 0
		.amdhsa_exception_fp_ieee_div_zero 0
		.amdhsa_exception_fp_ieee_overflow 0
		.amdhsa_exception_fp_ieee_underflow 0
		.amdhsa_exception_fp_ieee_inexact 0
		.amdhsa_exception_int_div_zero 0
	.end_amdhsa_kernel
	.section	.text._ZN9rocsolver6v33100L22larf_left_kernel_smallILi128EflPfEEvT1_S3_T2_lS3_lPKT0_lS4_lS3_l,"axG",@progbits,_ZN9rocsolver6v33100L22larf_left_kernel_smallILi128EflPfEEvT1_S3_T2_lS3_lPKT0_lS4_lS3_l,comdat
.Lfunc_end21:
	.size	_ZN9rocsolver6v33100L22larf_left_kernel_smallILi128EflPfEEvT1_S3_T2_lS3_lPKT0_lS4_lS3_l, .Lfunc_end21-_ZN9rocsolver6v33100L22larf_left_kernel_smallILi128EflPfEEvT1_S3_T2_lS3_lPKT0_lS4_lS3_l
                                        ; -- End function
	.set _ZN9rocsolver6v33100L22larf_left_kernel_smallILi128EflPfEEvT1_S3_T2_lS3_lPKT0_lS4_lS3_l.num_vgpr, 18
	.set _ZN9rocsolver6v33100L22larf_left_kernel_smallILi128EflPfEEvT1_S3_T2_lS3_lPKT0_lS4_lS3_l.num_agpr, 0
	.set _ZN9rocsolver6v33100L22larf_left_kernel_smallILi128EflPfEEvT1_S3_T2_lS3_lPKT0_lS4_lS3_l.numbered_sgpr, 26
	.set _ZN9rocsolver6v33100L22larf_left_kernel_smallILi128EflPfEEvT1_S3_T2_lS3_lPKT0_lS4_lS3_l.num_named_barrier, 0
	.set _ZN9rocsolver6v33100L22larf_left_kernel_smallILi128EflPfEEvT1_S3_T2_lS3_lPKT0_lS4_lS3_l.private_seg_size, 0
	.set _ZN9rocsolver6v33100L22larf_left_kernel_smallILi128EflPfEEvT1_S3_T2_lS3_lPKT0_lS4_lS3_l.uses_vcc, 1
	.set _ZN9rocsolver6v33100L22larf_left_kernel_smallILi128EflPfEEvT1_S3_T2_lS3_lPKT0_lS4_lS3_l.uses_flat_scratch, 0
	.set _ZN9rocsolver6v33100L22larf_left_kernel_smallILi128EflPfEEvT1_S3_T2_lS3_lPKT0_lS4_lS3_l.has_dyn_sized_stack, 0
	.set _ZN9rocsolver6v33100L22larf_left_kernel_smallILi128EflPfEEvT1_S3_T2_lS3_lPKT0_lS4_lS3_l.has_recursion, 0
	.set _ZN9rocsolver6v33100L22larf_left_kernel_smallILi128EflPfEEvT1_S3_T2_lS3_lPKT0_lS4_lS3_l.has_indirect_call, 0
	.section	.AMDGPU.csdata,"",@progbits
; Kernel info:
; codeLenInByte = 1328
; TotalNumSgprs: 28
; NumVgprs: 18
; ScratchSize: 0
; MemoryBound: 0
; FloatMode: 240
; IeeeMode: 1
; LDSByteSize: 8704 bytes/workgroup (compile time only)
; SGPRBlocks: 0
; VGPRBlocks: 2
; NumSGPRsForWavesPerEU: 28
; NumVGPRsForWavesPerEU: 18
; Occupancy: 15
; WaveLimiterHint : 0
; COMPUTE_PGM_RSRC2:SCRATCH_EN: 0
; COMPUTE_PGM_RSRC2:USER_SGPR: 2
; COMPUTE_PGM_RSRC2:TRAP_HANDLER: 0
; COMPUTE_PGM_RSRC2:TGID_X_EN: 1
; COMPUTE_PGM_RSRC2:TGID_Y_EN: 1
; COMPUTE_PGM_RSRC2:TGID_Z_EN: 0
; COMPUTE_PGM_RSRC2:TIDIG_COMP_CNT: 0
	.section	.text._ZN9rocsolver6v33100L22larf_left_kernel_smallILi256EflPfEEvT1_S3_T2_lS3_lPKT0_lS4_lS3_l,"axG",@progbits,_ZN9rocsolver6v33100L22larf_left_kernel_smallILi256EflPfEEvT1_S3_T2_lS3_lPKT0_lS4_lS3_l,comdat
	.globl	_ZN9rocsolver6v33100L22larf_left_kernel_smallILi256EflPfEEvT1_S3_T2_lS3_lPKT0_lS4_lS3_l ; -- Begin function _ZN9rocsolver6v33100L22larf_left_kernel_smallILi256EflPfEEvT1_S3_T2_lS3_lPKT0_lS4_lS3_l
	.p2align	8
	.type	_ZN9rocsolver6v33100L22larf_left_kernel_smallILi256EflPfEEvT1_S3_T2_lS3_lPKT0_lS4_lS3_l,@function
_ZN9rocsolver6v33100L22larf_left_kernel_smallILi256EflPfEEvT1_S3_T2_lS3_lPKT0_lS4_lS3_l: ; @_ZN9rocsolver6v33100L22larf_left_kernel_smallILi256EflPfEEvT1_S3_T2_lS3_lPKT0_lS4_lS3_l
; %bb.0:
	s_load_b512 s[8:23], s[0:1], 0x0
	s_mov_b32 s4, ttmp9
	s_mov_b64 s[6:7], 0
	s_wait_kmcnt 0x0
	v_cmp_gt_i64_e64 s2, s[16:17], 0
	s_and_b32 vcc_lo, exec_lo, s2
	s_cbranch_vccnz .LBB22_2
; %bb.1:
	s_sub_nc_u64 s[2:3], 1, s[8:9]
	s_delay_alu instid0(SALU_CYCLE_1)
	s_mul_u64 s[6:7], s[16:17], s[2:3]
.LBB22_2:
	v_dual_mov_b32 v1, 0 :: v_dual_lshlrev_b32 v8, 2, v0
	s_mov_b32 s5, 0
	s_delay_alu instid0(VALU_DEP_1)
	v_cmp_gt_i64_e64 s2, s[8:9], v[0:1]
	s_and_saveexec_b32 s24, s2
	s_cbranch_execz .LBB22_5
; %bb.3:
	v_mad_co_u64_u32 v[2:3], null, s16, v0, 0
	s_lshl_b64 s[14:15], s[14:15], 2
	s_mul_u64 s[18:19], s[18:19], s[4:5]
	s_lshl_b64 s[6:7], s[6:7], 2
	s_add_nc_u64 s[12:13], s[12:13], s[14:15]
	s_lshl_b64 s[14:15], s[18:19], 2
	s_add_nc_u64 s[6:7], s[12:13], s[6:7]
	v_mad_co_u64_u32 v[3:4], null, s17, v0, v[3:4]
	s_add_nc_u64 s[6:7], s[6:7], s[14:15]
	v_dual_mov_b32 v5, v1 :: v_dual_lshlrev_b32 v6, 2, v0
	v_mov_b32_e32 v4, v0
	s_mov_b32 s12, s5
	v_lshlrev_b64_e32 v[2:3], 2, v[2:3]
	s_delay_alu instid0(VALU_DEP_1) | instskip(NEXT) | instid1(VALU_DEP_1)
	v_add_co_u32 v2, vcc_lo, s6, v2
	v_add_co_ci_u32_e64 v3, null, s7, v3, vcc_lo
	s_lshl_b64 s[6:7], s[16:17], 10
.LBB22_4:                               ; =>This Inner Loop Header: Depth=1
	global_load_b32 v7, v[2:3], off
	v_add_co_u32 v4, vcc_lo, 0x100, v4
	s_wait_alu 0xfffd
	v_add_co_ci_u32_e64 v5, null, 0, v5, vcc_lo
	s_wait_alu 0xfffe
	v_add_co_u32 v2, vcc_lo, v2, s6
	s_wait_alu 0xfffd
	v_add_co_ci_u32_e64 v3, null, s7, v3, vcc_lo
	v_cmp_le_i64_e64 s3, s[8:9], v[4:5]
	s_or_b32 s12, s3, s12
	s_wait_loadcnt 0x0
	ds_store_b32 v6, v7
	v_add_nc_u32_e32 v6, 0x400, v6
	s_and_not1_b32 exec_lo, exec_lo, s12
	s_cbranch_execnz .LBB22_4
.LBB22_5:
	s_or_b32 exec_lo, exec_lo, s24
	s_mov_b32 s6, ttmp7
	s_mov_b32 s7, 0
	s_wait_dscnt 0x0
	s_wait_alu 0xfffe
	v_cmp_le_i64_e64 s3, s[10:11], s[6:7]
	s_barrier_signal -1
	s_barrier_wait -1
	global_inv scope:SCOPE_SE
	s_and_b32 vcc_lo, exec_lo, s3
	s_wait_alu 0xfffe
	s_cbranch_vccnz .LBB22_25
; %bb.6:
	s_load_b256 s[12:19], s[0:1], 0x40
	s_mul_u64 s[22:23], s[22:23], s[4:5]
	v_dual_mov_b32 v13, 0x200c :: v_dual_and_b32 v2, 31, v0
	s_lshl_b64 s[24:25], s[22:23], 2
	s_cmp_gt_i32 s8, 1
	v_dual_mov_b32 v10, 0 :: v_dual_lshlrev_b32 v3, 2, v0
	s_cselect_b32 s22, -1, 0
	v_mbcnt_lo_u32_b32 v11, -1, 0
	v_cmp_eq_u32_e64 s3, 0, v2
	v_cmp_gt_i32_e64 s0, s8, v0
	v_lshrrev_b32_e32 v9, 3, v0
	v_cmp_eq_u32_e64 s1, 0, v0
	v_mov_b32_e32 v12, 0x2004
	v_lshl_or_b32 v14, v11, 2, 64
	v_mov_b32_e32 v15, 0x2014
	s_wait_kmcnt 0x0
	s_mul_u64 s[4:5], s[18:19], s[4:5]
	s_mul_u64 s[18:19], s[16:17], s[6:7]
	s_lshl_b64 s[4:5], s[4:5], 2
	s_lshl_b64 s[18:19], s[18:19], 2
	;; [unrolled: 1-line block ×3, first 2 shown]
	s_add_nc_u64 s[4:5], s[4:5], s[18:19]
	s_delay_alu instid0(SALU_CYCLE_1)
	s_add_nc_u64 s[4:5], s[4:5], s[14:15]
	s_lshl_b64 s[14:15], s[16:17], 8
	s_add_nc_u64 s[4:5], s[12:13], s[4:5]
	s_add_nc_u64 s[12:13], s[20:21], s[24:25]
	v_add_co_u32 v2, s4, s4, v3
	s_wait_alu 0xf1ff
	v_add_co_ci_u32_e64 v3, null, s5, 0, s4
	s_branch .LBB22_8
.LBB22_7:                               ;   in Loop: Header=BB22_8 Depth=1
	s_wait_alu 0xfffe
	s_or_b32 exec_lo, exec_lo, s5
	s_add_nc_u64 s[6:7], s[6:7], 64
	v_add_co_u32 v2, vcc_lo, v2, s14
	s_wait_alu 0xfffe
	v_cmp_ge_i64_e64 s4, s[6:7], s[10:11]
	s_wait_alu 0xfffd
	v_add_co_ci_u32_e64 v3, null, s15, v3, vcc_lo
	s_and_b32 vcc_lo, exec_lo, s4
	s_wait_alu 0xfffe
	s_cbranch_vccnz .LBB22_25
.LBB22_8:                               ; =>This Loop Header: Depth=1
                                        ;     Child Loop BB22_10 Depth 2
                                        ;     Child Loop BB22_24 Depth 2
	v_mov_b32_e32 v6, 0
	s_and_saveexec_b32 s5, s0
	s_cbranch_execz .LBB22_12
; %bb.9:                                ;   in Loop: Header=BB22_8 Depth=1
	v_dual_mov_b32 v6, 0 :: v_dual_mov_b32 v5, v3
	v_dual_mov_b32 v4, v2 :: v_dual_mov_b32 v7, v8
	v_mov_b32_e32 v16, v0
	s_mov_b32 s16, 0
.LBB22_10:                              ;   Parent Loop BB22_8 Depth=1
                                        ; =>  This Inner Loop Header: Depth=2
	global_load_b32 v17, v[4:5], off
	ds_load_b32 v18, v7
	v_add_nc_u32_e32 v16, 0x100, v16
	v_add_co_u32 v4, vcc_lo, 0x400, v4
	v_add_nc_u32_e32 v7, 0x400, v7
	s_wait_alu 0xfffd
	v_add_co_ci_u32_e64 v5, null, 0, v5, vcc_lo
	v_cmp_le_i32_e64 s4, s8, v16
	s_wait_alu 0xfffe
	s_or_b32 s16, s4, s16
	s_wait_loadcnt_dscnt 0x0
	v_fmac_f32_e32 v6, v18, v17
	s_wait_alu 0xfffe
	s_and_not1_b32 exec_lo, exec_lo, s16
	s_cbranch_execnz .LBB22_10
; %bb.11:                               ;   in Loop: Header=BB22_8 Depth=1
	s_or_b32 exec_lo, exec_lo, s16
.LBB22_12:                              ;   in Loop: Header=BB22_8 Depth=1
	s_wait_alu 0xfffe
	s_or_b32 exec_lo, exec_lo, s5
	s_delay_alu instid0(SALU_CYCLE_1)
	s_and_b32 vcc_lo, exec_lo, s22
	s_wait_alu 0xfffe
	s_cbranch_vccz .LBB22_19
; %bb.13:                               ;   in Loop: Header=BB22_8 Depth=1
	v_cmp_ne_u32_e32 vcc_lo, 31, v11
	s_wait_alu 0xfffd
	v_add_co_ci_u32_e64 v4, null, 0, v11, vcc_lo
	v_cmp_gt_u32_e32 vcc_lo, 30, v11
	s_delay_alu instid0(VALU_DEP_2)
	v_lshlrev_b32_e32 v4, 2, v4
	s_wait_alu 0xfffd
	v_cndmask_b32_e64 v5, 0, 2, vcc_lo
	v_cmp_gt_u32_e32 vcc_lo, 28, v11
	ds_bpermute_b32 v4, v4, v6
	v_add_lshl_u32 v5, v5, v11, 2
	s_wait_alu 0xfffd
	v_cndmask_b32_e64 v7, 0, 4, vcc_lo
	v_cmp_gt_u32_e32 vcc_lo, 24, v11
	s_delay_alu instid0(VALU_DEP_2)
	v_add_lshl_u32 v7, v7, v11, 2
	s_wait_dscnt 0x0
	v_add_f32_e32 v4, v6, v4
	ds_bpermute_b32 v5, v5, v4
	s_wait_dscnt 0x0
	v_add_f32_e32 v4, v4, v5
	ds_bpermute_b32 v5, v7, v4
	s_wait_alu 0xfffd
	v_cndmask_b32_e64 v7, 0, 8, vcc_lo
	s_wait_dscnt 0x0
	v_add_f32_e32 v4, v4, v5
	s_delay_alu instid0(VALU_DEP_2)
	v_add_lshl_u32 v5, v7, v11, 2
	ds_bpermute_b32 v5, v5, v4
	s_wait_dscnt 0x0
	v_add_f32_e32 v4, v4, v5
	ds_bpermute_b32 v5, v14, v4
	s_wait_dscnt 0x0
	v_add_f32_e32 v4, v4, v5
	s_and_saveexec_b32 s4, s3
; %bb.14:                               ;   in Loop: Header=BB22_8 Depth=1
	ds_store_b32 v9, v4 offset:8192
; %bb.15:                               ;   in Loop: Header=BB22_8 Depth=1
	s_wait_alu 0xfffe
	s_or_b32 exec_lo, exec_lo, s4
	s_mov_b32 s5, 0
	s_mov_b32 s4, 0
	s_wait_loadcnt_dscnt 0x0
	s_barrier_signal -1
	s_barrier_wait -1
	global_inv scope:SCOPE_SE
                                        ; implicit-def: $vgpr5
	s_and_saveexec_b32 s16, s1
	s_wait_alu 0xfffe
	s_xor_b32 s16, exec_lo, s16
	s_cbranch_execz .LBB22_17
; %bb.16:                               ;   in Loop: Header=BB22_8 Depth=1
	ds_load_2addr_b32 v[16:17], v12 offset1:1
	ds_load_2addr_b32 v[18:19], v13 offset1:1
	;; [unrolled: 1-line block ×3, first 2 shown]
	ds_load_b32 v5, v10 offset:8220
	s_mov_b32 s4, exec_lo
	s_wait_dscnt 0x3
	v_add_f32_e32 v4, v4, v16
	s_delay_alu instid0(VALU_DEP_1) | instskip(SKIP_1) | instid1(VALU_DEP_1)
	v_add_f32_e32 v4, v4, v17
	s_wait_dscnt 0x2
	v_add_f32_e32 v4, v4, v18
	s_delay_alu instid0(VALU_DEP_1) | instskip(SKIP_1) | instid1(VALU_DEP_1)
	v_add_f32_e32 v4, v4, v19
	s_wait_dscnt 0x1
	v_add_f32_e32 v4, v4, v20
	s_delay_alu instid0(VALU_DEP_1) | instskip(SKIP_1) | instid1(VALU_DEP_1)
	v_add_f32_e32 v4, v4, v21
	s_wait_dscnt 0x0
	v_add_f32_e32 v5, v4, v5
.LBB22_17:                              ;   in Loop: Header=BB22_8 Depth=1
	s_wait_alu 0xfffe
	s_or_b32 exec_lo, exec_lo, s16
	s_delay_alu instid0(SALU_CYCLE_1)
	s_and_b32 vcc_lo, exec_lo, s5
	s_wait_alu 0xfffe
	s_cbranch_vccnz .LBB22_20
.LBB22_18:                              ;   in Loop: Header=BB22_8 Depth=1
	v_mov_b32_e32 v6, v5
	s_wait_alu 0xfffe
	s_and_saveexec_b32 s5, s4
	s_cbranch_execnz .LBB22_21
	s_branch .LBB22_22
.LBB22_19:                              ;   in Loop: Header=BB22_8 Depth=1
	s_mov_b32 s4, 0
                                        ; implicit-def: $vgpr5
	s_cbranch_execz .LBB22_18
.LBB22_20:                              ;   in Loop: Header=BB22_8 Depth=1
	s_wait_alu 0xfffe
	s_and_not1_b32 s4, s4, exec_lo
	s_and_b32 s5, s1, exec_lo
	s_wait_alu 0xfffe
	s_or_b32 s4, s4, s5
	s_wait_alu 0xfffe
	s_and_saveexec_b32 s5, s4
.LBB22_21:                              ;   in Loop: Header=BB22_8 Depth=1
	ds_store_b32 v10, v6 offset:8192
.LBB22_22:                              ;   in Loop: Header=BB22_8 Depth=1
	s_wait_alu 0xfffe
	s_or_b32 exec_lo, exec_lo, s5
	s_wait_loadcnt_dscnt 0x0
	s_barrier_signal -1
	s_barrier_wait -1
	global_inv scope:SCOPE_SE
	s_and_saveexec_b32 s5, s2
	s_cbranch_execz .LBB22_7
; %bb.23:                               ;   in Loop: Header=BB22_8 Depth=1
	global_load_b32 v4, v10, s[12:13]
	ds_load_b32 v6, v10 offset:8192
	s_mov_b32 s16, 0
	s_wait_loadcnt 0x0
	v_xor_b32_e32 v7, 0x80000000, v4
	v_dual_mov_b32 v5, v3 :: v_dual_mov_b32 v4, v2
	s_wait_dscnt 0x0
	s_delay_alu instid0(VALU_DEP_2)
	v_dual_mov_b32 v16, v8 :: v_dual_mul_f32 v17, v6, v7
	v_dual_mov_b32 v7, v1 :: v_dual_mov_b32 v6, v0
.LBB22_24:                              ;   Parent Loop BB22_8 Depth=1
                                        ; =>  This Inner Loop Header: Depth=2
	global_load_b32 v18, v[4:5], off
	ds_load_b32 v19, v16
	v_add_co_u32 v6, vcc_lo, 0x100, v6
	s_wait_alu 0xfffd
	v_add_co_ci_u32_e64 v7, null, 0, v7, vcc_lo
	v_add_nc_u32_e32 v16, 0x400, v16
	s_delay_alu instid0(VALU_DEP_2)
	v_cmp_le_i64_e32 vcc_lo, s[8:9], v[6:7]
	s_wait_alu 0xfffe
	s_or_b32 s16, vcc_lo, s16
	s_wait_loadcnt_dscnt 0x0
	v_fmac_f32_e32 v18, v17, v19
	global_store_b32 v[4:5], v18, off
	v_add_co_u32 v4, s4, 0x400, v4
	s_wait_alu 0xf1ff
	v_add_co_ci_u32_e64 v5, null, 0, v5, s4
	s_wait_alu 0xfffe
	s_and_not1_b32 exec_lo, exec_lo, s16
	s_cbranch_execnz .LBB22_24
	s_branch .LBB22_7
.LBB22_25:
	s_endpgm
	.section	.rodata,"a",@progbits
	.p2align	6, 0x0
	.amdhsa_kernel _ZN9rocsolver6v33100L22larf_left_kernel_smallILi256EflPfEEvT1_S3_T2_lS3_lPKT0_lS4_lS3_l
		.amdhsa_group_segment_fixed_size 9216
		.amdhsa_private_segment_fixed_size 0
		.amdhsa_kernarg_size 96
		.amdhsa_user_sgpr_count 2
		.amdhsa_user_sgpr_dispatch_ptr 0
		.amdhsa_user_sgpr_queue_ptr 0
		.amdhsa_user_sgpr_kernarg_segment_ptr 1
		.amdhsa_user_sgpr_dispatch_id 0
		.amdhsa_user_sgpr_private_segment_size 0
		.amdhsa_wavefront_size32 1
		.amdhsa_uses_dynamic_stack 0
		.amdhsa_enable_private_segment 0
		.amdhsa_system_sgpr_workgroup_id_x 1
		.amdhsa_system_sgpr_workgroup_id_y 1
		.amdhsa_system_sgpr_workgroup_id_z 0
		.amdhsa_system_sgpr_workgroup_info 0
		.amdhsa_system_vgpr_workitem_id 0
		.amdhsa_next_free_vgpr 22
		.amdhsa_next_free_sgpr 26
		.amdhsa_reserve_vcc 1
		.amdhsa_float_round_mode_32 0
		.amdhsa_float_round_mode_16_64 0
		.amdhsa_float_denorm_mode_32 3
		.amdhsa_float_denorm_mode_16_64 3
		.amdhsa_fp16_overflow 0
		.amdhsa_workgroup_processor_mode 1
		.amdhsa_memory_ordered 1
		.amdhsa_forward_progress 1
		.amdhsa_inst_pref_size 11
		.amdhsa_round_robin_scheduling 0
		.amdhsa_exception_fp_ieee_invalid_op 0
		.amdhsa_exception_fp_denorm_src 0
		.amdhsa_exception_fp_ieee_div_zero 0
		.amdhsa_exception_fp_ieee_overflow 0
		.amdhsa_exception_fp_ieee_underflow 0
		.amdhsa_exception_fp_ieee_inexact 0
		.amdhsa_exception_int_div_zero 0
	.end_amdhsa_kernel
	.section	.text._ZN9rocsolver6v33100L22larf_left_kernel_smallILi256EflPfEEvT1_S3_T2_lS3_lPKT0_lS4_lS3_l,"axG",@progbits,_ZN9rocsolver6v33100L22larf_left_kernel_smallILi256EflPfEEvT1_S3_T2_lS3_lPKT0_lS4_lS3_l,comdat
.Lfunc_end22:
	.size	_ZN9rocsolver6v33100L22larf_left_kernel_smallILi256EflPfEEvT1_S3_T2_lS3_lPKT0_lS4_lS3_l, .Lfunc_end22-_ZN9rocsolver6v33100L22larf_left_kernel_smallILi256EflPfEEvT1_S3_T2_lS3_lPKT0_lS4_lS3_l
                                        ; -- End function
	.set _ZN9rocsolver6v33100L22larf_left_kernel_smallILi256EflPfEEvT1_S3_T2_lS3_lPKT0_lS4_lS3_l.num_vgpr, 22
	.set _ZN9rocsolver6v33100L22larf_left_kernel_smallILi256EflPfEEvT1_S3_T2_lS3_lPKT0_lS4_lS3_l.num_agpr, 0
	.set _ZN9rocsolver6v33100L22larf_left_kernel_smallILi256EflPfEEvT1_S3_T2_lS3_lPKT0_lS4_lS3_l.numbered_sgpr, 26
	.set _ZN9rocsolver6v33100L22larf_left_kernel_smallILi256EflPfEEvT1_S3_T2_lS3_lPKT0_lS4_lS3_l.num_named_barrier, 0
	.set _ZN9rocsolver6v33100L22larf_left_kernel_smallILi256EflPfEEvT1_S3_T2_lS3_lPKT0_lS4_lS3_l.private_seg_size, 0
	.set _ZN9rocsolver6v33100L22larf_left_kernel_smallILi256EflPfEEvT1_S3_T2_lS3_lPKT0_lS4_lS3_l.uses_vcc, 1
	.set _ZN9rocsolver6v33100L22larf_left_kernel_smallILi256EflPfEEvT1_S3_T2_lS3_lPKT0_lS4_lS3_l.uses_flat_scratch, 0
	.set _ZN9rocsolver6v33100L22larf_left_kernel_smallILi256EflPfEEvT1_S3_T2_lS3_lPKT0_lS4_lS3_l.has_dyn_sized_stack, 0
	.set _ZN9rocsolver6v33100L22larf_left_kernel_smallILi256EflPfEEvT1_S3_T2_lS3_lPKT0_lS4_lS3_l.has_recursion, 0
	.set _ZN9rocsolver6v33100L22larf_left_kernel_smallILi256EflPfEEvT1_S3_T2_lS3_lPKT0_lS4_lS3_l.has_indirect_call, 0
	.section	.AMDGPU.csdata,"",@progbits
; Kernel info:
; codeLenInByte = 1392
; TotalNumSgprs: 28
; NumVgprs: 22
; ScratchSize: 0
; MemoryBound: 0
; FloatMode: 240
; IeeeMode: 1
; LDSByteSize: 9216 bytes/workgroup (compile time only)
; SGPRBlocks: 0
; VGPRBlocks: 2
; NumSGPRsForWavesPerEU: 28
; NumVGPRsForWavesPerEU: 22
; Occupancy: 16
; WaveLimiterHint : 0
; COMPUTE_PGM_RSRC2:SCRATCH_EN: 0
; COMPUTE_PGM_RSRC2:USER_SGPR: 2
; COMPUTE_PGM_RSRC2:TRAP_HANDLER: 0
; COMPUTE_PGM_RSRC2:TGID_X_EN: 1
; COMPUTE_PGM_RSRC2:TGID_Y_EN: 1
; COMPUTE_PGM_RSRC2:TGID_Z_EN: 0
; COMPUTE_PGM_RSRC2:TIDIG_COMP_CNT: 0
	.section	.text._ZN9rocsolver6v33100L22larf_left_kernel_smallILi512EflPfEEvT1_S3_T2_lS3_lPKT0_lS4_lS3_l,"axG",@progbits,_ZN9rocsolver6v33100L22larf_left_kernel_smallILi512EflPfEEvT1_S3_T2_lS3_lPKT0_lS4_lS3_l,comdat
	.globl	_ZN9rocsolver6v33100L22larf_left_kernel_smallILi512EflPfEEvT1_S3_T2_lS3_lPKT0_lS4_lS3_l ; -- Begin function _ZN9rocsolver6v33100L22larf_left_kernel_smallILi512EflPfEEvT1_S3_T2_lS3_lPKT0_lS4_lS3_l
	.p2align	8
	.type	_ZN9rocsolver6v33100L22larf_left_kernel_smallILi512EflPfEEvT1_S3_T2_lS3_lPKT0_lS4_lS3_l,@function
_ZN9rocsolver6v33100L22larf_left_kernel_smallILi512EflPfEEvT1_S3_T2_lS3_lPKT0_lS4_lS3_l: ; @_ZN9rocsolver6v33100L22larf_left_kernel_smallILi512EflPfEEvT1_S3_T2_lS3_lPKT0_lS4_lS3_l
; %bb.0:
	s_load_b512 s[8:23], s[0:1], 0x0
	s_mov_b32 s4, ttmp9
	s_mov_b64 s[6:7], 0
	s_wait_kmcnt 0x0
	v_cmp_gt_i64_e64 s2, s[16:17], 0
	s_and_b32 vcc_lo, exec_lo, s2
	s_cbranch_vccnz .LBB23_2
; %bb.1:
	s_sub_nc_u64 s[2:3], 1, s[8:9]
	s_delay_alu instid0(SALU_CYCLE_1)
	s_mul_u64 s[6:7], s[16:17], s[2:3]
.LBB23_2:
	v_dual_mov_b32 v1, 0 :: v_dual_lshlrev_b32 v8, 2, v0
	s_mov_b32 s5, 0
	s_delay_alu instid0(VALU_DEP_1)
	v_cmp_gt_i64_e64 s2, s[8:9], v[0:1]
	s_and_saveexec_b32 s24, s2
	s_cbranch_execz .LBB23_5
; %bb.3:
	v_mad_co_u64_u32 v[2:3], null, s16, v0, 0
	s_lshl_b64 s[14:15], s[14:15], 2
	s_mul_u64 s[18:19], s[18:19], s[4:5]
	s_lshl_b64 s[6:7], s[6:7], 2
	s_add_nc_u64 s[12:13], s[12:13], s[14:15]
	s_lshl_b64 s[14:15], s[18:19], 2
	s_add_nc_u64 s[6:7], s[12:13], s[6:7]
	v_mad_co_u64_u32 v[3:4], null, s17, v0, v[3:4]
	s_add_nc_u64 s[6:7], s[6:7], s[14:15]
	v_dual_mov_b32 v5, v1 :: v_dual_lshlrev_b32 v6, 2, v0
	v_mov_b32_e32 v4, v0
	s_mov_b32 s12, s5
	v_lshlrev_b64_e32 v[2:3], 2, v[2:3]
	s_delay_alu instid0(VALU_DEP_1) | instskip(NEXT) | instid1(VALU_DEP_1)
	v_add_co_u32 v2, vcc_lo, s6, v2
	v_add_co_ci_u32_e64 v3, null, s7, v3, vcc_lo
	s_lshl_b64 s[6:7], s[16:17], 11
.LBB23_4:                               ; =>This Inner Loop Header: Depth=1
	global_load_b32 v7, v[2:3], off
	v_add_co_u32 v4, vcc_lo, 0x200, v4
	s_wait_alu 0xfffd
	v_add_co_ci_u32_e64 v5, null, 0, v5, vcc_lo
	s_wait_alu 0xfffe
	v_add_co_u32 v2, vcc_lo, v2, s6
	s_wait_alu 0xfffd
	v_add_co_ci_u32_e64 v3, null, s7, v3, vcc_lo
	v_cmp_le_i64_e64 s3, s[8:9], v[4:5]
	s_or_b32 s12, s3, s12
	s_wait_loadcnt 0x0
	ds_store_b32 v6, v7
	v_add_nc_u32_e32 v6, 0x800, v6
	s_and_not1_b32 exec_lo, exec_lo, s12
	s_cbranch_execnz .LBB23_4
.LBB23_5:
	s_or_b32 exec_lo, exec_lo, s24
	s_mov_b32 s6, ttmp7
	s_mov_b32 s7, 0
	s_wait_dscnt 0x0
	s_wait_alu 0xfffe
	v_cmp_le_i64_e64 s3, s[10:11], s[6:7]
	s_barrier_signal -1
	s_barrier_wait -1
	global_inv scope:SCOPE_SE
	s_and_b32 vcc_lo, exec_lo, s3
	s_wait_alu 0xfffe
	s_cbranch_vccnz .LBB23_25
; %bb.6:
	s_load_b256 s[12:19], s[0:1], 0x40
	s_mul_u64 s[22:23], s[22:23], s[4:5]
	v_dual_mov_b32 v13, 0x200c :: v_dual_and_b32 v2, 31, v0
	s_lshl_b64 s[24:25], s[22:23], 2
	s_cmp_gt_i32 s8, 1
	v_dual_mov_b32 v10, 0 :: v_dual_lshlrev_b32 v3, 2, v0
	s_cselect_b32 s22, -1, 0
	v_mbcnt_lo_u32_b32 v11, -1, 0
	v_cmp_eq_u32_e64 s3, 0, v2
	v_cmp_gt_i32_e64 s0, s8, v0
	v_lshrrev_b32_e32 v9, 3, v0
	v_cmp_eq_u32_e64 s1, 0, v0
	v_mov_b32_e32 v12, 0x2004
	v_mov_b32_e32 v14, 0x2014
	;; [unrolled: 1-line block ×4, first 2 shown]
	v_lshl_or_b32 v17, v11, 2, 64
	v_mov_b32_e32 v18, 0x202c
	s_wait_kmcnt 0x0
	s_mul_u64 s[4:5], s[18:19], s[4:5]
	s_mul_u64 s[18:19], s[16:17], s[6:7]
	s_lshl_b64 s[4:5], s[4:5], 2
	s_lshl_b64 s[18:19], s[18:19], 2
	;; [unrolled: 1-line block ×3, first 2 shown]
	s_add_nc_u64 s[4:5], s[4:5], s[18:19]
	v_mov_b32_e32 v19, 0x2034
	s_add_nc_u64 s[4:5], s[4:5], s[14:15]
	s_lshl_b64 s[14:15], s[16:17], 8
	s_add_nc_u64 s[4:5], s[12:13], s[4:5]
	s_add_nc_u64 s[12:13], s[20:21], s[24:25]
	v_add_co_u32 v2, s4, s4, v3
	s_wait_alu 0xf1ff
	v_add_co_ci_u32_e64 v3, null, s5, 0, s4
	s_branch .LBB23_8
.LBB23_7:                               ;   in Loop: Header=BB23_8 Depth=1
	s_wait_alu 0xfffe
	s_or_b32 exec_lo, exec_lo, s5
	s_add_nc_u64 s[6:7], s[6:7], 64
	v_add_co_u32 v2, vcc_lo, v2, s14
	s_wait_alu 0xfffe
	v_cmp_ge_i64_e64 s4, s[6:7], s[10:11]
	s_wait_alu 0xfffd
	v_add_co_ci_u32_e64 v3, null, s15, v3, vcc_lo
	s_and_b32 vcc_lo, exec_lo, s4
	s_wait_alu 0xfffe
	s_cbranch_vccnz .LBB23_25
.LBB23_8:                               ; =>This Loop Header: Depth=1
                                        ;     Child Loop BB23_10 Depth 2
                                        ;     Child Loop BB23_24 Depth 2
	v_mov_b32_e32 v6, 0
	s_and_saveexec_b32 s5, s0
	s_cbranch_execz .LBB23_12
; %bb.9:                                ;   in Loop: Header=BB23_8 Depth=1
	v_dual_mov_b32 v6, 0 :: v_dual_mov_b32 v5, v3
	v_dual_mov_b32 v4, v2 :: v_dual_mov_b32 v7, v8
	v_mov_b32_e32 v20, v0
	s_mov_b32 s16, 0
.LBB23_10:                              ;   Parent Loop BB23_8 Depth=1
                                        ; =>  This Inner Loop Header: Depth=2
	global_load_b32 v21, v[4:5], off
	ds_load_b32 v22, v7
	v_add_nc_u32_e32 v20, 0x200, v20
	v_add_co_u32 v4, vcc_lo, 0x800, v4
	v_add_nc_u32_e32 v7, 0x800, v7
	s_wait_alu 0xfffd
	v_add_co_ci_u32_e64 v5, null, 0, v5, vcc_lo
	v_cmp_le_i32_e64 s4, s8, v20
	s_wait_alu 0xfffe
	s_or_b32 s16, s4, s16
	s_wait_loadcnt_dscnt 0x0
	v_fmac_f32_e32 v6, v22, v21
	s_wait_alu 0xfffe
	s_and_not1_b32 exec_lo, exec_lo, s16
	s_cbranch_execnz .LBB23_10
; %bb.11:                               ;   in Loop: Header=BB23_8 Depth=1
	s_or_b32 exec_lo, exec_lo, s16
.LBB23_12:                              ;   in Loop: Header=BB23_8 Depth=1
	s_wait_alu 0xfffe
	s_or_b32 exec_lo, exec_lo, s5
	s_delay_alu instid0(SALU_CYCLE_1)
	s_and_b32 vcc_lo, exec_lo, s22
	s_wait_alu 0xfffe
	s_cbranch_vccz .LBB23_19
; %bb.13:                               ;   in Loop: Header=BB23_8 Depth=1
	v_cmp_ne_u32_e32 vcc_lo, 31, v11
	s_wait_alu 0xfffd
	v_add_co_ci_u32_e64 v4, null, 0, v11, vcc_lo
	v_cmp_gt_u32_e32 vcc_lo, 30, v11
	s_delay_alu instid0(VALU_DEP_2)
	v_lshlrev_b32_e32 v4, 2, v4
	s_wait_alu 0xfffd
	v_cndmask_b32_e64 v5, 0, 2, vcc_lo
	v_cmp_gt_u32_e32 vcc_lo, 28, v11
	ds_bpermute_b32 v4, v4, v6
	v_add_lshl_u32 v5, v5, v11, 2
	s_wait_alu 0xfffd
	v_cndmask_b32_e64 v7, 0, 4, vcc_lo
	v_cmp_gt_u32_e32 vcc_lo, 24, v11
	s_delay_alu instid0(VALU_DEP_2)
	v_add_lshl_u32 v7, v7, v11, 2
	s_wait_dscnt 0x0
	v_add_f32_e32 v4, v6, v4
	ds_bpermute_b32 v5, v5, v4
	s_wait_dscnt 0x0
	v_add_f32_e32 v4, v4, v5
	ds_bpermute_b32 v5, v7, v4
	s_wait_alu 0xfffd
	v_cndmask_b32_e64 v7, 0, 8, vcc_lo
	s_wait_dscnt 0x0
	v_add_f32_e32 v4, v4, v5
	s_delay_alu instid0(VALU_DEP_2)
	v_add_lshl_u32 v5, v7, v11, 2
	ds_bpermute_b32 v5, v5, v4
	s_wait_dscnt 0x0
	v_add_f32_e32 v4, v4, v5
	ds_bpermute_b32 v5, v17, v4
	s_wait_dscnt 0x0
	v_add_f32_e32 v4, v4, v5
	s_and_saveexec_b32 s4, s3
; %bb.14:                               ;   in Loop: Header=BB23_8 Depth=1
	ds_store_b32 v9, v4 offset:8192
; %bb.15:                               ;   in Loop: Header=BB23_8 Depth=1
	s_wait_alu 0xfffe
	s_or_b32 exec_lo, exec_lo, s4
	s_mov_b32 s5, 0
	s_mov_b32 s4, 0
	s_wait_loadcnt_dscnt 0x0
	s_barrier_signal -1
	s_barrier_wait -1
	global_inv scope:SCOPE_SE
                                        ; implicit-def: $vgpr5
	s_and_saveexec_b32 s16, s1
	s_wait_alu 0xfffe
	s_xor_b32 s16, exec_lo, s16
	s_cbranch_execz .LBB23_17
; %bb.16:                               ;   in Loop: Header=BB23_8 Depth=1
	ds_load_2addr_b32 v[20:21], v12 offset1:1
	ds_load_2addr_b32 v[22:23], v13 offset1:1
	;; [unrolled: 1-line block ×4, first 2 shown]
	s_mov_b32 s4, exec_lo
	s_wait_dscnt 0x3
	v_add_f32_e32 v4, v4, v20
	s_delay_alu instid0(VALU_DEP_1) | instskip(SKIP_3) | instid1(VALU_DEP_1)
	v_add_f32_e32 v4, v4, v21
	ds_load_2addr_b32 v[20:21], v18 offset1:1
	s_wait_dscnt 0x3
	v_add_f32_e32 v4, v4, v22
	v_add_f32_e32 v4, v4, v23
	s_wait_dscnt 0x2
	s_delay_alu instid0(VALU_DEP_1)
	v_add_f32_e32 v7, v4, v24
	ds_load_2addr_b32 v[4:5], v16 offset1:1
	ds_load_2addr_b32 v[22:23], v19 offset1:1
	ds_load_b32 v24, v10 offset:8252
	v_add_f32_e32 v7, v7, v25
	s_wait_dscnt 0x4
	s_delay_alu instid0(VALU_DEP_1) | instskip(NEXT) | instid1(VALU_DEP_1)
	v_add_f32_e32 v7, v7, v26
	v_add_f32_e32 v7, v7, v27
	s_wait_dscnt 0x2
	s_delay_alu instid0(VALU_DEP_1) | instskip(NEXT) | instid1(VALU_DEP_1)
	v_add_f32_e32 v4, v7, v4
	v_add_f32_e32 v4, v4, v5
	s_delay_alu instid0(VALU_DEP_1) | instskip(NEXT) | instid1(VALU_DEP_1)
	v_add_f32_e32 v4, v4, v20
	v_add_f32_e32 v4, v4, v21
	s_wait_dscnt 0x1
	s_delay_alu instid0(VALU_DEP_1) | instskip(NEXT) | instid1(VALU_DEP_1)
	v_add_f32_e32 v4, v4, v22
	v_add_f32_e32 v4, v4, v23
	s_wait_dscnt 0x0
	s_delay_alu instid0(VALU_DEP_1)
	v_add_f32_e32 v5, v4, v24
.LBB23_17:                              ;   in Loop: Header=BB23_8 Depth=1
	s_wait_alu 0xfffe
	s_or_b32 exec_lo, exec_lo, s16
	s_delay_alu instid0(SALU_CYCLE_1)
	s_and_b32 vcc_lo, exec_lo, s5
	s_wait_alu 0xfffe
	s_cbranch_vccnz .LBB23_20
.LBB23_18:                              ;   in Loop: Header=BB23_8 Depth=1
	v_mov_b32_e32 v6, v5
	s_wait_alu 0xfffe
	s_and_saveexec_b32 s5, s4
	s_cbranch_execnz .LBB23_21
	s_branch .LBB23_22
.LBB23_19:                              ;   in Loop: Header=BB23_8 Depth=1
	s_mov_b32 s4, 0
                                        ; implicit-def: $vgpr5
	s_cbranch_execz .LBB23_18
.LBB23_20:                              ;   in Loop: Header=BB23_8 Depth=1
	s_wait_alu 0xfffe
	s_and_not1_b32 s4, s4, exec_lo
	s_and_b32 s5, s1, exec_lo
	s_wait_alu 0xfffe
	s_or_b32 s4, s4, s5
	s_wait_alu 0xfffe
	s_and_saveexec_b32 s5, s4
.LBB23_21:                              ;   in Loop: Header=BB23_8 Depth=1
	ds_store_b32 v10, v6 offset:8192
.LBB23_22:                              ;   in Loop: Header=BB23_8 Depth=1
	s_wait_alu 0xfffe
	s_or_b32 exec_lo, exec_lo, s5
	s_wait_loadcnt_dscnt 0x0
	s_barrier_signal -1
	s_barrier_wait -1
	global_inv scope:SCOPE_SE
	s_and_saveexec_b32 s5, s2
	s_cbranch_execz .LBB23_7
; %bb.23:                               ;   in Loop: Header=BB23_8 Depth=1
	global_load_b32 v4, v10, s[12:13]
	ds_load_b32 v6, v10 offset:8192
	s_mov_b32 s16, 0
	s_wait_loadcnt 0x0
	v_xor_b32_e32 v7, 0x80000000, v4
	v_dual_mov_b32 v5, v3 :: v_dual_mov_b32 v4, v2
	s_wait_dscnt 0x0
	s_delay_alu instid0(VALU_DEP_2)
	v_dual_mov_b32 v20, v8 :: v_dual_mul_f32 v21, v6, v7
	v_dual_mov_b32 v7, v1 :: v_dual_mov_b32 v6, v0
.LBB23_24:                              ;   Parent Loop BB23_8 Depth=1
                                        ; =>  This Inner Loop Header: Depth=2
	global_load_b32 v22, v[4:5], off
	ds_load_b32 v23, v20
	v_add_co_u32 v6, vcc_lo, 0x200, v6
	s_wait_alu 0xfffd
	v_add_co_ci_u32_e64 v7, null, 0, v7, vcc_lo
	v_add_nc_u32_e32 v20, 0x800, v20
	s_delay_alu instid0(VALU_DEP_2)
	v_cmp_le_i64_e32 vcc_lo, s[8:9], v[6:7]
	s_wait_alu 0xfffe
	s_or_b32 s16, vcc_lo, s16
	s_wait_loadcnt_dscnt 0x0
	v_fmac_f32_e32 v22, v21, v23
	global_store_b32 v[4:5], v22, off
	v_add_co_u32 v4, s4, 0x800, v4
	s_wait_alu 0xf1ff
	v_add_co_ci_u32_e64 v5, null, 0, v5, s4
	s_wait_alu 0xfffe
	s_and_not1_b32 exec_lo, exec_lo, s16
	s_cbranch_execnz .LBB23_24
	s_branch .LBB23_7
.LBB23_25:
	s_endpgm
	.section	.rodata,"a",@progbits
	.p2align	6, 0x0
	.amdhsa_kernel _ZN9rocsolver6v33100L22larf_left_kernel_smallILi512EflPfEEvT1_S3_T2_lS3_lPKT0_lS4_lS3_l
		.amdhsa_group_segment_fixed_size 10240
		.amdhsa_private_segment_fixed_size 0
		.amdhsa_kernarg_size 96
		.amdhsa_user_sgpr_count 2
		.amdhsa_user_sgpr_dispatch_ptr 0
		.amdhsa_user_sgpr_queue_ptr 0
		.amdhsa_user_sgpr_kernarg_segment_ptr 1
		.amdhsa_user_sgpr_dispatch_id 0
		.amdhsa_user_sgpr_private_segment_size 0
		.amdhsa_wavefront_size32 1
		.amdhsa_uses_dynamic_stack 0
		.amdhsa_enable_private_segment 0
		.amdhsa_system_sgpr_workgroup_id_x 1
		.amdhsa_system_sgpr_workgroup_id_y 1
		.amdhsa_system_sgpr_workgroup_id_z 0
		.amdhsa_system_sgpr_workgroup_info 0
		.amdhsa_system_vgpr_workitem_id 0
		.amdhsa_next_free_vgpr 28
		.amdhsa_next_free_sgpr 26
		.amdhsa_reserve_vcc 1
		.amdhsa_float_round_mode_32 0
		.amdhsa_float_round_mode_16_64 0
		.amdhsa_float_denorm_mode_32 3
		.amdhsa_float_denorm_mode_16_64 3
		.amdhsa_fp16_overflow 0
		.amdhsa_workgroup_processor_mode 1
		.amdhsa_memory_ordered 1
		.amdhsa_forward_progress 1
		.amdhsa_inst_pref_size 12
		.amdhsa_round_robin_scheduling 0
		.amdhsa_exception_fp_ieee_invalid_op 0
		.amdhsa_exception_fp_denorm_src 0
		.amdhsa_exception_fp_ieee_div_zero 0
		.amdhsa_exception_fp_ieee_overflow 0
		.amdhsa_exception_fp_ieee_underflow 0
		.amdhsa_exception_fp_ieee_inexact 0
		.amdhsa_exception_int_div_zero 0
	.end_amdhsa_kernel
	.section	.text._ZN9rocsolver6v33100L22larf_left_kernel_smallILi512EflPfEEvT1_S3_T2_lS3_lPKT0_lS4_lS3_l,"axG",@progbits,_ZN9rocsolver6v33100L22larf_left_kernel_smallILi512EflPfEEvT1_S3_T2_lS3_lPKT0_lS4_lS3_l,comdat
.Lfunc_end23:
	.size	_ZN9rocsolver6v33100L22larf_left_kernel_smallILi512EflPfEEvT1_S3_T2_lS3_lPKT0_lS4_lS3_l, .Lfunc_end23-_ZN9rocsolver6v33100L22larf_left_kernel_smallILi512EflPfEEvT1_S3_T2_lS3_lPKT0_lS4_lS3_l
                                        ; -- End function
	.set _ZN9rocsolver6v33100L22larf_left_kernel_smallILi512EflPfEEvT1_S3_T2_lS3_lPKT0_lS4_lS3_l.num_vgpr, 28
	.set _ZN9rocsolver6v33100L22larf_left_kernel_smallILi512EflPfEEvT1_S3_T2_lS3_lPKT0_lS4_lS3_l.num_agpr, 0
	.set _ZN9rocsolver6v33100L22larf_left_kernel_smallILi512EflPfEEvT1_S3_T2_lS3_lPKT0_lS4_lS3_l.numbered_sgpr, 26
	.set _ZN9rocsolver6v33100L22larf_left_kernel_smallILi512EflPfEEvT1_S3_T2_lS3_lPKT0_lS4_lS3_l.num_named_barrier, 0
	.set _ZN9rocsolver6v33100L22larf_left_kernel_smallILi512EflPfEEvT1_S3_T2_lS3_lPKT0_lS4_lS3_l.private_seg_size, 0
	.set _ZN9rocsolver6v33100L22larf_left_kernel_smallILi512EflPfEEvT1_S3_T2_lS3_lPKT0_lS4_lS3_l.uses_vcc, 1
	.set _ZN9rocsolver6v33100L22larf_left_kernel_smallILi512EflPfEEvT1_S3_T2_lS3_lPKT0_lS4_lS3_l.uses_flat_scratch, 0
	.set _ZN9rocsolver6v33100L22larf_left_kernel_smallILi512EflPfEEvT1_S3_T2_lS3_lPKT0_lS4_lS3_l.has_dyn_sized_stack, 0
	.set _ZN9rocsolver6v33100L22larf_left_kernel_smallILi512EflPfEEvT1_S3_T2_lS3_lPKT0_lS4_lS3_l.has_recursion, 0
	.set _ZN9rocsolver6v33100L22larf_left_kernel_smallILi512EflPfEEvT1_S3_T2_lS3_lPKT0_lS4_lS3_l.has_indirect_call, 0
	.section	.AMDGPU.csdata,"",@progbits
; Kernel info:
; codeLenInByte = 1512
; TotalNumSgprs: 28
; NumVgprs: 28
; ScratchSize: 0
; MemoryBound: 0
; FloatMode: 240
; IeeeMode: 1
; LDSByteSize: 10240 bytes/workgroup (compile time only)
; SGPRBlocks: 0
; VGPRBlocks: 3
; NumSGPRsForWavesPerEU: 28
; NumVGPRsForWavesPerEU: 28
; Occupancy: 16
; WaveLimiterHint : 0
; COMPUTE_PGM_RSRC2:SCRATCH_EN: 0
; COMPUTE_PGM_RSRC2:USER_SGPR: 2
; COMPUTE_PGM_RSRC2:TRAP_HANDLER: 0
; COMPUTE_PGM_RSRC2:TGID_X_EN: 1
; COMPUTE_PGM_RSRC2:TGID_Y_EN: 1
; COMPUTE_PGM_RSRC2:TGID_Z_EN: 0
; COMPUTE_PGM_RSRC2:TIDIG_COMP_CNT: 0
	.section	.text._ZN9rocsolver6v33100L22larf_left_kernel_smallILi1024EflPfEEvT1_S3_T2_lS3_lPKT0_lS4_lS3_l,"axG",@progbits,_ZN9rocsolver6v33100L22larf_left_kernel_smallILi1024EflPfEEvT1_S3_T2_lS3_lPKT0_lS4_lS3_l,comdat
	.globl	_ZN9rocsolver6v33100L22larf_left_kernel_smallILi1024EflPfEEvT1_S3_T2_lS3_lPKT0_lS4_lS3_l ; -- Begin function _ZN9rocsolver6v33100L22larf_left_kernel_smallILi1024EflPfEEvT1_S3_T2_lS3_lPKT0_lS4_lS3_l
	.p2align	8
	.type	_ZN9rocsolver6v33100L22larf_left_kernel_smallILi1024EflPfEEvT1_S3_T2_lS3_lPKT0_lS4_lS3_l,@function
_ZN9rocsolver6v33100L22larf_left_kernel_smallILi1024EflPfEEvT1_S3_T2_lS3_lPKT0_lS4_lS3_l: ; @_ZN9rocsolver6v33100L22larf_left_kernel_smallILi1024EflPfEEvT1_S3_T2_lS3_lPKT0_lS4_lS3_l
; %bb.0:
	s_load_b512 s[8:23], s[0:1], 0x0
	s_mov_b32 s4, ttmp9
	s_mov_b64 s[6:7], 0
	s_wait_kmcnt 0x0
	v_cmp_gt_i64_e64 s2, s[16:17], 0
	s_and_b32 vcc_lo, exec_lo, s2
	s_cbranch_vccnz .LBB24_2
; %bb.1:
	s_sub_nc_u64 s[2:3], 1, s[8:9]
	s_delay_alu instid0(SALU_CYCLE_1)
	s_mul_u64 s[6:7], s[16:17], s[2:3]
.LBB24_2:
	v_dual_mov_b32 v1, 0 :: v_dual_lshlrev_b32 v8, 2, v0
	s_mov_b32 s5, 0
	s_delay_alu instid0(VALU_DEP_1)
	v_cmp_gt_i64_e64 s2, s[8:9], v[0:1]
	s_and_saveexec_b32 s24, s2
	s_cbranch_execz .LBB24_5
; %bb.3:
	v_mad_co_u64_u32 v[2:3], null, s16, v0, 0
	s_lshl_b64 s[14:15], s[14:15], 2
	s_mul_u64 s[18:19], s[18:19], s[4:5]
	s_lshl_b64 s[6:7], s[6:7], 2
	s_add_nc_u64 s[12:13], s[12:13], s[14:15]
	s_lshl_b64 s[14:15], s[18:19], 2
	s_add_nc_u64 s[6:7], s[12:13], s[6:7]
	v_mad_co_u64_u32 v[3:4], null, s17, v0, v[3:4]
	s_add_nc_u64 s[6:7], s[6:7], s[14:15]
	v_dual_mov_b32 v5, v1 :: v_dual_lshlrev_b32 v6, 2, v0
	v_mov_b32_e32 v4, v0
	s_mov_b32 s12, s5
	v_lshlrev_b64_e32 v[2:3], 2, v[2:3]
	s_delay_alu instid0(VALU_DEP_1) | instskip(NEXT) | instid1(VALU_DEP_1)
	v_add_co_u32 v2, vcc_lo, s6, v2
	v_add_co_ci_u32_e64 v3, null, s7, v3, vcc_lo
	s_lshl_b64 s[6:7], s[16:17], 12
.LBB24_4:                               ; =>This Inner Loop Header: Depth=1
	global_load_b32 v7, v[2:3], off
	v_add_co_u32 v4, vcc_lo, 0x400, v4
	s_wait_alu 0xfffd
	v_add_co_ci_u32_e64 v5, null, 0, v5, vcc_lo
	s_wait_alu 0xfffe
	v_add_co_u32 v2, vcc_lo, v2, s6
	s_wait_alu 0xfffd
	v_add_co_ci_u32_e64 v3, null, s7, v3, vcc_lo
	v_cmp_le_i64_e64 s3, s[8:9], v[4:5]
	s_or_b32 s12, s3, s12
	s_wait_loadcnt 0x0
	ds_store_b32 v6, v7
	v_add_nc_u32_e32 v6, 0x1000, v6
	s_and_not1_b32 exec_lo, exec_lo, s12
	s_cbranch_execnz .LBB24_4
.LBB24_5:
	s_or_b32 exec_lo, exec_lo, s24
	s_mov_b32 s6, ttmp7
	s_mov_b32 s7, 0
	s_wait_dscnt 0x0
	s_wait_alu 0xfffe
	v_cmp_le_i64_e64 s3, s[10:11], s[6:7]
	s_barrier_signal -1
	s_barrier_wait -1
	global_inv scope:SCOPE_SE
	s_and_b32 vcc_lo, exec_lo, s3
	s_wait_alu 0xfffe
	s_cbranch_vccnz .LBB24_25
; %bb.6:
	s_load_b256 s[12:19], s[0:1], 0x40
	s_mul_u64 s[22:23], s[22:23], s[4:5]
	v_dual_mov_b32 v13, 0x200c :: v_dual_and_b32 v2, 31, v0
	s_lshl_b64 s[24:25], s[22:23], 2
	s_cmp_gt_i32 s8, 1
	v_dual_mov_b32 v10, 0 :: v_dual_lshlrev_b32 v3, 2, v0
	s_cselect_b32 s22, -1, 0
	v_mbcnt_lo_u32_b32 v11, -1, 0
	v_cmp_eq_u32_e64 s3, 0, v2
	v_cmp_gt_i32_e64 s0, s8, v0
	v_lshrrev_b32_e32 v9, 3, v0
	v_cmp_eq_u32_e64 s1, 0, v0
	v_mov_b32_e32 v12, 0x2004
	v_mov_b32_e32 v14, 0x2014
	;; [unrolled: 1-line block ×4, first 2 shown]
	v_lshl_or_b32 v17, v11, 2, 64
	v_mov_b32_e32 v18, 0x202c
	s_wait_kmcnt 0x0
	s_mul_u64 s[4:5], s[18:19], s[4:5]
	s_mul_u64 s[18:19], s[16:17], s[6:7]
	s_lshl_b64 s[4:5], s[4:5], 2
	s_lshl_b64 s[18:19], s[18:19], 2
	;; [unrolled: 1-line block ×3, first 2 shown]
	s_add_nc_u64 s[4:5], s[4:5], s[18:19]
	v_mov_b32_e32 v19, 0x2034
	s_add_nc_u64 s[4:5], s[4:5], s[14:15]
	v_mov_b32_e32 v20, 0x203c
	;; [unrolled: 2-line block ×3, first 2 shown]
	v_add_co_u32 v2, s4, s4, v3
	s_wait_alu 0xf1ff
	v_add_co_ci_u32_e64 v3, null, s5, 0, s4
	v_mov_b32_e32 v22, 0x204c
	v_mov_b32_e32 v23, 0x2054
	;; [unrolled: 1-line block ×6, first 2 shown]
	s_add_nc_u64 s[12:13], s[20:21], s[24:25]
	s_lshl_b64 s[14:15], s[16:17], 8
	s_branch .LBB24_8
.LBB24_7:                               ;   in Loop: Header=BB24_8 Depth=1
	s_wait_alu 0xfffe
	s_or_b32 exec_lo, exec_lo, s5
	s_add_nc_u64 s[6:7], s[6:7], 64
	v_add_co_u32 v2, vcc_lo, v2, s14
	s_wait_alu 0xfffe
	v_cmp_ge_i64_e64 s4, s[6:7], s[10:11]
	s_wait_alu 0xfffd
	v_add_co_ci_u32_e64 v3, null, s15, v3, vcc_lo
	s_and_b32 vcc_lo, exec_lo, s4
	s_wait_alu 0xfffe
	s_cbranch_vccnz .LBB24_25
.LBB24_8:                               ; =>This Loop Header: Depth=1
                                        ;     Child Loop BB24_10 Depth 2
                                        ;     Child Loop BB24_24 Depth 2
	v_mov_b32_e32 v6, 0
	s_and_saveexec_b32 s5, s0
	s_cbranch_execz .LBB24_12
; %bb.9:                                ;   in Loop: Header=BB24_8 Depth=1
	v_dual_mov_b32 v6, 0 :: v_dual_mov_b32 v5, v3
	v_dual_mov_b32 v4, v2 :: v_dual_mov_b32 v7, v8
	v_mov_b32_e32 v28, v0
	s_mov_b32 s16, 0
.LBB24_10:                              ;   Parent Loop BB24_8 Depth=1
                                        ; =>  This Inner Loop Header: Depth=2
	global_load_b32 v29, v[4:5], off
	ds_load_b32 v30, v7
	v_add_nc_u32_e32 v28, 0x400, v28
	v_add_co_u32 v4, vcc_lo, 0x1000, v4
	v_add_nc_u32_e32 v7, 0x1000, v7
	s_wait_alu 0xfffd
	v_add_co_ci_u32_e64 v5, null, 0, v5, vcc_lo
	v_cmp_le_i32_e64 s4, s8, v28
	s_wait_alu 0xfffe
	s_or_b32 s16, s4, s16
	s_wait_loadcnt_dscnt 0x0
	v_fmac_f32_e32 v6, v30, v29
	s_wait_alu 0xfffe
	s_and_not1_b32 exec_lo, exec_lo, s16
	s_cbranch_execnz .LBB24_10
; %bb.11:                               ;   in Loop: Header=BB24_8 Depth=1
	s_or_b32 exec_lo, exec_lo, s16
.LBB24_12:                              ;   in Loop: Header=BB24_8 Depth=1
	s_wait_alu 0xfffe
	s_or_b32 exec_lo, exec_lo, s5
	s_delay_alu instid0(SALU_CYCLE_1)
	s_and_b32 vcc_lo, exec_lo, s22
	s_wait_alu 0xfffe
	s_cbranch_vccz .LBB24_19
; %bb.13:                               ;   in Loop: Header=BB24_8 Depth=1
	v_cmp_ne_u32_e32 vcc_lo, 31, v11
	s_wait_alu 0xfffd
	v_add_co_ci_u32_e64 v4, null, 0, v11, vcc_lo
	v_cmp_gt_u32_e32 vcc_lo, 30, v11
	s_delay_alu instid0(VALU_DEP_2)
	v_lshlrev_b32_e32 v4, 2, v4
	s_wait_alu 0xfffd
	v_cndmask_b32_e64 v5, 0, 2, vcc_lo
	v_cmp_gt_u32_e32 vcc_lo, 28, v11
	ds_bpermute_b32 v4, v4, v6
	v_add_lshl_u32 v5, v5, v11, 2
	s_wait_alu 0xfffd
	v_cndmask_b32_e64 v7, 0, 4, vcc_lo
	v_cmp_gt_u32_e32 vcc_lo, 24, v11
	s_delay_alu instid0(VALU_DEP_2)
	v_add_lshl_u32 v7, v7, v11, 2
	s_wait_dscnt 0x0
	v_add_f32_e32 v4, v6, v4
	ds_bpermute_b32 v5, v5, v4
	s_wait_dscnt 0x0
	v_add_f32_e32 v4, v4, v5
	ds_bpermute_b32 v5, v7, v4
	s_wait_alu 0xfffd
	v_cndmask_b32_e64 v7, 0, 8, vcc_lo
	s_wait_dscnt 0x0
	v_add_f32_e32 v4, v4, v5
	s_delay_alu instid0(VALU_DEP_2)
	v_add_lshl_u32 v5, v7, v11, 2
	ds_bpermute_b32 v5, v5, v4
	s_wait_dscnt 0x0
	v_add_f32_e32 v4, v4, v5
	ds_bpermute_b32 v5, v17, v4
	s_wait_dscnt 0x0
	v_add_f32_e32 v4, v4, v5
	s_and_saveexec_b32 s4, s3
; %bb.14:                               ;   in Loop: Header=BB24_8 Depth=1
	ds_store_b32 v9, v4 offset:8192
; %bb.15:                               ;   in Loop: Header=BB24_8 Depth=1
	s_wait_alu 0xfffe
	s_or_b32 exec_lo, exec_lo, s4
	s_mov_b32 s5, 0
	s_mov_b32 s4, 0
	s_wait_loadcnt_dscnt 0x0
	s_barrier_signal -1
	s_barrier_wait -1
	global_inv scope:SCOPE_SE
                                        ; implicit-def: $vgpr5
	s_and_saveexec_b32 s16, s1
	s_wait_alu 0xfffe
	s_xor_b32 s16, exec_lo, s16
	s_cbranch_execz .LBB24_17
; %bb.16:                               ;   in Loop: Header=BB24_8 Depth=1
	ds_load_2addr_b32 v[28:29], v12 offset1:1
	ds_load_2addr_b32 v[30:31], v13 offset1:1
	;; [unrolled: 1-line block ×4, first 2 shown]
	s_mov_b32 s4, exec_lo
	s_wait_dscnt 0x3
	v_add_f32_e32 v4, v4, v28
	s_delay_alu instid0(VALU_DEP_1) | instskip(SKIP_3) | instid1(VALU_DEP_1)
	v_add_f32_e32 v4, v4, v29
	ds_load_2addr_b32 v[28:29], v18 offset1:1
	s_wait_dscnt 0x3
	v_add_f32_e32 v4, v4, v30
	v_add_f32_e32 v7, v4, v31
	ds_load_2addr_b32 v[4:5], v16 offset1:1
	s_wait_dscnt 0x3
	v_add_f32_e32 v7, v7, v32
	s_delay_alu instid0(VALU_DEP_1) | instskip(SKIP_4) | instid1(VALU_DEP_1)
	v_add_f32_e32 v7, v7, v33
	ds_load_2addr_b32 v[30:31], v19 offset1:1
	ds_load_2addr_b32 v[32:33], v20 offset1:1
	s_wait_dscnt 0x4
	v_add_f32_e32 v7, v7, v34
	v_add_f32_e32 v7, v7, v35
	s_wait_dscnt 0x2
	s_delay_alu instid0(VALU_DEP_1) | instskip(NEXT) | instid1(VALU_DEP_1)
	v_add_f32_e32 v4, v7, v4
	v_add_f32_e32 v4, v4, v5
	s_delay_alu instid0(VALU_DEP_1) | instskip(NEXT) | instid1(VALU_DEP_1)
	v_add_f32_e32 v4, v4, v28
	v_add_f32_e32 v7, v4, v29
	ds_load_2addr_b32 v[4:5], v21 offset1:1
	ds_load_2addr_b32 v[28:29], v22 offset1:1
	s_wait_dscnt 0x3
	v_add_f32_e32 v7, v7, v30
	s_delay_alu instid0(VALU_DEP_1) | instskip(SKIP_1) | instid1(VALU_DEP_1)
	v_add_f32_e32 v7, v7, v31
	s_wait_dscnt 0x2
	v_add_f32_e32 v7, v7, v32
	s_delay_alu instid0(VALU_DEP_1) | instskip(SKIP_4) | instid1(VALU_DEP_1)
	v_add_f32_e32 v7, v7, v33
	ds_load_2addr_b32 v[30:31], v23 offset1:1
	ds_load_2addr_b32 v[32:33], v24 offset1:1
	s_wait_dscnt 0x3
	v_add_f32_e32 v4, v7, v4
	v_add_f32_e32 v4, v4, v5
	s_wait_dscnt 0x2
	s_delay_alu instid0(VALU_DEP_1) | instskip(NEXT) | instid1(VALU_DEP_1)
	v_add_f32_e32 v4, v4, v28
	v_add_f32_e32 v4, v4, v29
	ds_load_2addr_b32 v[28:29], v26 offset1:1
	s_wait_dscnt 0x2
	v_add_f32_e32 v7, v4, v30
	ds_load_2addr_b32 v[4:5], v25 offset1:1
	v_add_f32_e32 v7, v7, v31
	s_wait_dscnt 0x2
	s_delay_alu instid0(VALU_DEP_1) | instskip(SKIP_4) | instid1(VALU_DEP_1)
	v_add_f32_e32 v7, v7, v32
	ds_load_2addr_b32 v[30:31], v27 offset1:1
	ds_load_b32 v32, v10 offset:8316
	v_add_f32_e32 v7, v7, v33
	s_wait_dscnt 0x2
	v_add_f32_e32 v4, v7, v4
	s_delay_alu instid0(VALU_DEP_1) | instskip(NEXT) | instid1(VALU_DEP_1)
	v_add_f32_e32 v4, v4, v5
	v_add_f32_e32 v4, v4, v28
	s_delay_alu instid0(VALU_DEP_1) | instskip(SKIP_1) | instid1(VALU_DEP_1)
	v_add_f32_e32 v4, v4, v29
	s_wait_dscnt 0x1
	v_add_f32_e32 v4, v4, v30
	s_delay_alu instid0(VALU_DEP_1) | instskip(SKIP_1) | instid1(VALU_DEP_1)
	v_add_f32_e32 v4, v4, v31
	s_wait_dscnt 0x0
	v_add_f32_e32 v5, v4, v32
.LBB24_17:                              ;   in Loop: Header=BB24_8 Depth=1
	s_wait_alu 0xfffe
	s_or_b32 exec_lo, exec_lo, s16
	s_delay_alu instid0(SALU_CYCLE_1)
	s_and_b32 vcc_lo, exec_lo, s5
	s_wait_alu 0xfffe
	s_cbranch_vccnz .LBB24_20
.LBB24_18:                              ;   in Loop: Header=BB24_8 Depth=1
	v_mov_b32_e32 v6, v5
	s_wait_alu 0xfffe
	s_and_saveexec_b32 s5, s4
	s_cbranch_execnz .LBB24_21
	s_branch .LBB24_22
.LBB24_19:                              ;   in Loop: Header=BB24_8 Depth=1
	s_mov_b32 s4, 0
                                        ; implicit-def: $vgpr5
	s_cbranch_execz .LBB24_18
.LBB24_20:                              ;   in Loop: Header=BB24_8 Depth=1
	s_wait_alu 0xfffe
	s_and_not1_b32 s4, s4, exec_lo
	s_and_b32 s5, s1, exec_lo
	s_wait_alu 0xfffe
	s_or_b32 s4, s4, s5
	s_wait_alu 0xfffe
	s_and_saveexec_b32 s5, s4
.LBB24_21:                              ;   in Loop: Header=BB24_8 Depth=1
	ds_store_b32 v10, v6 offset:8192
.LBB24_22:                              ;   in Loop: Header=BB24_8 Depth=1
	s_wait_alu 0xfffe
	s_or_b32 exec_lo, exec_lo, s5
	s_wait_loadcnt_dscnt 0x0
	s_barrier_signal -1
	s_barrier_wait -1
	global_inv scope:SCOPE_SE
	s_and_saveexec_b32 s5, s2
	s_cbranch_execz .LBB24_7
; %bb.23:                               ;   in Loop: Header=BB24_8 Depth=1
	global_load_b32 v4, v10, s[12:13]
	ds_load_b32 v6, v10 offset:8192
	s_mov_b32 s16, 0
	s_wait_loadcnt 0x0
	v_xor_b32_e32 v7, 0x80000000, v4
	v_dual_mov_b32 v5, v3 :: v_dual_mov_b32 v4, v2
	s_wait_dscnt 0x0
	s_delay_alu instid0(VALU_DEP_2)
	v_dual_mov_b32 v28, v8 :: v_dual_mul_f32 v29, v6, v7
	v_dual_mov_b32 v7, v1 :: v_dual_mov_b32 v6, v0
.LBB24_24:                              ;   Parent Loop BB24_8 Depth=1
                                        ; =>  This Inner Loop Header: Depth=2
	global_load_b32 v30, v[4:5], off
	ds_load_b32 v31, v28
	v_add_co_u32 v6, vcc_lo, 0x400, v6
	s_wait_alu 0xfffd
	v_add_co_ci_u32_e64 v7, null, 0, v7, vcc_lo
	v_add_nc_u32_e32 v28, 0x1000, v28
	s_delay_alu instid0(VALU_DEP_2)
	v_cmp_le_i64_e32 vcc_lo, s[8:9], v[6:7]
	s_wait_alu 0xfffe
	s_or_b32 s16, vcc_lo, s16
	s_wait_loadcnt_dscnt 0x0
	v_fmac_f32_e32 v30, v29, v31
	global_store_b32 v[4:5], v30, off
	v_add_co_u32 v4, s4, 0x1000, v4
	s_wait_alu 0xf1ff
	v_add_co_ci_u32_e64 v5, null, 0, v5, s4
	s_wait_alu 0xfffe
	s_and_not1_b32 exec_lo, exec_lo, s16
	s_cbranch_execnz .LBB24_24
	s_branch .LBB24_7
.LBB24_25:
	s_endpgm
	.section	.rodata,"a",@progbits
	.p2align	6, 0x0
	.amdhsa_kernel _ZN9rocsolver6v33100L22larf_left_kernel_smallILi1024EflPfEEvT1_S3_T2_lS3_lPKT0_lS4_lS3_l
		.amdhsa_group_segment_fixed_size 12288
		.amdhsa_private_segment_fixed_size 0
		.amdhsa_kernarg_size 96
		.amdhsa_user_sgpr_count 2
		.amdhsa_user_sgpr_dispatch_ptr 0
		.amdhsa_user_sgpr_queue_ptr 0
		.amdhsa_user_sgpr_kernarg_segment_ptr 1
		.amdhsa_user_sgpr_dispatch_id 0
		.amdhsa_user_sgpr_private_segment_size 0
		.amdhsa_wavefront_size32 1
		.amdhsa_uses_dynamic_stack 0
		.amdhsa_enable_private_segment 0
		.amdhsa_system_sgpr_workgroup_id_x 1
		.amdhsa_system_sgpr_workgroup_id_y 1
		.amdhsa_system_sgpr_workgroup_id_z 0
		.amdhsa_system_sgpr_workgroup_info 0
		.amdhsa_system_vgpr_workitem_id 0
		.amdhsa_next_free_vgpr 36
		.amdhsa_next_free_sgpr 26
		.amdhsa_reserve_vcc 1
		.amdhsa_float_round_mode_32 0
		.amdhsa_float_round_mode_16_64 0
		.amdhsa_float_denorm_mode_32 3
		.amdhsa_float_denorm_mode_16_64 3
		.amdhsa_fp16_overflow 0
		.amdhsa_workgroup_processor_mode 1
		.amdhsa_memory_ordered 1
		.amdhsa_forward_progress 1
		.amdhsa_inst_pref_size 14
		.amdhsa_round_robin_scheduling 0
		.amdhsa_exception_fp_ieee_invalid_op 0
		.amdhsa_exception_fp_denorm_src 0
		.amdhsa_exception_fp_ieee_div_zero 0
		.amdhsa_exception_fp_ieee_overflow 0
		.amdhsa_exception_fp_ieee_underflow 0
		.amdhsa_exception_fp_ieee_inexact 0
		.amdhsa_exception_int_div_zero 0
	.end_amdhsa_kernel
	.section	.text._ZN9rocsolver6v33100L22larf_left_kernel_smallILi1024EflPfEEvT1_S3_T2_lS3_lPKT0_lS4_lS3_l,"axG",@progbits,_ZN9rocsolver6v33100L22larf_left_kernel_smallILi1024EflPfEEvT1_S3_T2_lS3_lPKT0_lS4_lS3_l,comdat
.Lfunc_end24:
	.size	_ZN9rocsolver6v33100L22larf_left_kernel_smallILi1024EflPfEEvT1_S3_T2_lS3_lPKT0_lS4_lS3_l, .Lfunc_end24-_ZN9rocsolver6v33100L22larf_left_kernel_smallILi1024EflPfEEvT1_S3_T2_lS3_lPKT0_lS4_lS3_l
                                        ; -- End function
	.set _ZN9rocsolver6v33100L22larf_left_kernel_smallILi1024EflPfEEvT1_S3_T2_lS3_lPKT0_lS4_lS3_l.num_vgpr, 36
	.set _ZN9rocsolver6v33100L22larf_left_kernel_smallILi1024EflPfEEvT1_S3_T2_lS3_lPKT0_lS4_lS3_l.num_agpr, 0
	.set _ZN9rocsolver6v33100L22larf_left_kernel_smallILi1024EflPfEEvT1_S3_T2_lS3_lPKT0_lS4_lS3_l.numbered_sgpr, 26
	.set _ZN9rocsolver6v33100L22larf_left_kernel_smallILi1024EflPfEEvT1_S3_T2_lS3_lPKT0_lS4_lS3_l.num_named_barrier, 0
	.set _ZN9rocsolver6v33100L22larf_left_kernel_smallILi1024EflPfEEvT1_S3_T2_lS3_lPKT0_lS4_lS3_l.private_seg_size, 0
	.set _ZN9rocsolver6v33100L22larf_left_kernel_smallILi1024EflPfEEvT1_S3_T2_lS3_lPKT0_lS4_lS3_l.uses_vcc, 1
	.set _ZN9rocsolver6v33100L22larf_left_kernel_smallILi1024EflPfEEvT1_S3_T2_lS3_lPKT0_lS4_lS3_l.uses_flat_scratch, 0
	.set _ZN9rocsolver6v33100L22larf_left_kernel_smallILi1024EflPfEEvT1_S3_T2_lS3_lPKT0_lS4_lS3_l.has_dyn_sized_stack, 0
	.set _ZN9rocsolver6v33100L22larf_left_kernel_smallILi1024EflPfEEvT1_S3_T2_lS3_lPKT0_lS4_lS3_l.has_recursion, 0
	.set _ZN9rocsolver6v33100L22larf_left_kernel_smallILi1024EflPfEEvT1_S3_T2_lS3_lPKT0_lS4_lS3_l.has_indirect_call, 0
	.section	.AMDGPU.csdata,"",@progbits
; Kernel info:
; codeLenInByte = 1748
; TotalNumSgprs: 28
; NumVgprs: 36
; ScratchSize: 0
; MemoryBound: 0
; FloatMode: 240
; IeeeMode: 1
; LDSByteSize: 12288 bytes/workgroup (compile time only)
; SGPRBlocks: 0
; VGPRBlocks: 4
; NumSGPRsForWavesPerEU: 28
; NumVGPRsForWavesPerEU: 36
; Occupancy: 16
; WaveLimiterHint : 0
; COMPUTE_PGM_RSRC2:SCRATCH_EN: 0
; COMPUTE_PGM_RSRC2:USER_SGPR: 2
; COMPUTE_PGM_RSRC2:TRAP_HANDLER: 0
; COMPUTE_PGM_RSRC2:TGID_X_EN: 1
; COMPUTE_PGM_RSRC2:TGID_Y_EN: 1
; COMPUTE_PGM_RSRC2:TGID_Z_EN: 0
; COMPUTE_PGM_RSRC2:TIDIG_COMP_CNT: 0
	.section	.text._ZN9rocsolver6v33100L23larf_right_kernel_smallILi64EflPfEEvT1_S3_T2_lS3_lPKT0_lS4_lS3_l,"axG",@progbits,_ZN9rocsolver6v33100L23larf_right_kernel_smallILi64EflPfEEvT1_S3_T2_lS3_lPKT0_lS4_lS3_l,comdat
	.globl	_ZN9rocsolver6v33100L23larf_right_kernel_smallILi64EflPfEEvT1_S3_T2_lS3_lPKT0_lS4_lS3_l ; -- Begin function _ZN9rocsolver6v33100L23larf_right_kernel_smallILi64EflPfEEvT1_S3_T2_lS3_lPKT0_lS4_lS3_l
	.p2align	8
	.type	_ZN9rocsolver6v33100L23larf_right_kernel_smallILi64EflPfEEvT1_S3_T2_lS3_lPKT0_lS4_lS3_l,@function
_ZN9rocsolver6v33100L23larf_right_kernel_smallILi64EflPfEEvT1_S3_T2_lS3_lPKT0_lS4_lS3_l: ; @_ZN9rocsolver6v33100L23larf_right_kernel_smallILi64EflPfEEvT1_S3_T2_lS3_lPKT0_lS4_lS3_l
; %bb.0:
	s_load_b512 s[8:23], s[0:1], 0x0
	s_mov_b32 s4, ttmp9
	s_mov_b64 s[6:7], 0
	s_wait_kmcnt 0x0
	v_cmp_gt_i64_e64 s2, s[16:17], 0
	s_and_b32 vcc_lo, exec_lo, s2
	s_cbranch_vccnz .LBB25_2
; %bb.1:
	s_sub_nc_u64 s[2:3], 1, s[10:11]
	s_delay_alu instid0(SALU_CYCLE_1)
	s_mul_u64 s[6:7], s[16:17], s[2:3]
.LBB25_2:
	v_dual_mov_b32 v1, 0 :: v_dual_lshlrev_b32 v8, 2, v0
	s_mov_b32 s5, 0
	s_delay_alu instid0(VALU_DEP_1)
	v_cmp_gt_i64_e64 s2, s[10:11], v[0:1]
	s_and_saveexec_b32 s24, s2
	s_cbranch_execz .LBB25_5
; %bb.3:
	v_mad_co_u64_u32 v[2:3], null, s16, v0, 0
	s_lshl_b64 s[14:15], s[14:15], 2
	s_mul_u64 s[18:19], s[18:19], s[4:5]
	s_lshl_b64 s[6:7], s[6:7], 2
	s_add_nc_u64 s[12:13], s[12:13], s[14:15]
	s_lshl_b64 s[14:15], s[18:19], 2
	s_add_nc_u64 s[6:7], s[12:13], s[6:7]
	v_mad_co_u64_u32 v[3:4], null, s17, v0, v[3:4]
	s_add_nc_u64 s[6:7], s[6:7], s[14:15]
	v_dual_mov_b32 v5, v1 :: v_dual_lshlrev_b32 v6, 2, v0
	v_mov_b32_e32 v4, v0
	s_mov_b32 s12, s5
	v_lshlrev_b64_e32 v[2:3], 2, v[2:3]
	s_delay_alu instid0(VALU_DEP_1) | instskip(NEXT) | instid1(VALU_DEP_1)
	v_add_co_u32 v2, vcc_lo, s6, v2
	v_add_co_ci_u32_e64 v3, null, s7, v3, vcc_lo
	s_lshl_b64 s[6:7], s[16:17], 8
.LBB25_4:                               ; =>This Inner Loop Header: Depth=1
	global_load_b32 v7, v[2:3], off
	v_add_co_u32 v4, vcc_lo, v4, 64
	s_wait_alu 0xfffd
	v_add_co_ci_u32_e64 v5, null, 0, v5, vcc_lo
	s_wait_alu 0xfffe
	v_add_co_u32 v2, vcc_lo, v2, s6
	s_wait_alu 0xfffd
	v_add_co_ci_u32_e64 v3, null, s7, v3, vcc_lo
	v_cmp_le_i64_e64 s3, s[10:11], v[4:5]
	s_or_b32 s12, s3, s12
	s_wait_loadcnt 0x0
	ds_store_b32 v6, v7
	v_add_nc_u32_e32 v6, 0x100, v6
	s_and_not1_b32 exec_lo, exec_lo, s12
	s_cbranch_execnz .LBB25_4
.LBB25_5:
	s_or_b32 exec_lo, exec_lo, s24
	s_mov_b32 s6, ttmp7
	s_mov_b32 s7, 0
	s_wait_dscnt 0x0
	s_wait_alu 0xfffe
	v_cmp_le_i64_e64 s3, s[8:9], s[6:7]
	s_barrier_signal -1
	s_barrier_wait -1
	global_inv scope:SCOPE_SE
	s_and_b32 vcc_lo, exec_lo, s3
	s_wait_alu 0xfffe
	s_cbranch_vccnz .LBB25_25
; %bb.6:
	s_load_b256 s[12:19], s[0:1], 0x40
	s_mul_u64 s[22:23], s[22:23], s[4:5]
	v_and_b32_e32 v5, 31, v0
	s_lshl_b64 s[22:23], s[22:23], 2
	v_mbcnt_lo_u32_b32 v10, -1, 0
	v_cmp_gt_i32_e64 s0, s10, v0
	v_lshrrev_b32_e32 v9, 3, v0
	v_cmp_eq_u32_e64 s1, 0, v0
	v_cmp_eq_u32_e64 s3, 0, v5
	v_lshl_or_b32 v11, v10, 2, 64
	v_mov_b32_e32 v13, 0
	s_wait_kmcnt 0x0
	v_mad_co_u64_u32 v[2:3], null, s16, v0, 0
	s_mul_u64 s[4:5], s[18:19], s[4:5]
	s_lshl_b64 s[14:15], s[14:15], 2
	s_lshl_b64 s[4:5], s[4:5], 2
	s_cmp_gt_i32 s10, 1
	v_mul_lo_u32 v12, v0, s16
	s_cselect_b32 s18, -1, 0
	v_mad_co_u64_u32 v[3:4], null, s17, v0, v[3:4]
	s_lshl_b64 s[24:25], s[6:7], 2
	s_lshl_b32 s19, s16, 6
	s_add_nc_u64 s[24:25], s[12:13], s[24:25]
	s_add_nc_u64 s[12:13], s[12:13], s[4:5]
	s_add_nc_u64 s[24:25], s[24:25], s[14:15]
	s_add_nc_u64 s[12:13], s[12:13], s[14:15]
	v_lshlrev_b64_e32 v[2:3], 2, v[2:3]
	s_add_nc_u64 s[4:5], s[24:25], s[4:5]
	s_add_nc_u64 s[14:15], s[20:21], s[22:23]
	s_lshl_b64 s[16:17], s[16:17], 8
	s_delay_alu instid0(VALU_DEP_1)
	v_add_co_u32 v2, vcc_lo, s4, v2
	s_wait_alu 0xfffd
	v_add_co_ci_u32_e64 v3, null, s5, v3, vcc_lo
	s_branch .LBB25_8
.LBB25_7:                               ;   in Loop: Header=BB25_8 Depth=1
	s_wait_alu 0xfffe
	s_or_b32 exec_lo, exec_lo, s5
	s_add_nc_u64 s[6:7], s[6:7], 64
	v_add_co_u32 v2, vcc_lo, 0x100, v2
	s_wait_alu 0xfffe
	v_cmp_ge_i64_e64 s4, s[6:7], s[8:9]
	s_wait_alu 0xfffd
	v_add_co_ci_u32_e64 v3, null, 0, v3, vcc_lo
	s_and_b32 vcc_lo, exec_lo, s4
	s_wait_alu 0xfffe
	s_cbranch_vccnz .LBB25_25
.LBB25_8:                               ; =>This Loop Header: Depth=1
                                        ;     Child Loop BB25_10 Depth 2
                                        ;     Child Loop BB25_24 Depth 2
	v_mov_b32_e32 v6, 0
	s_and_saveexec_b32 s20, s0
	s_cbranch_execz .LBB25_12
; %bb.9:                                ;   in Loop: Header=BB25_8 Depth=1
	v_dual_mov_b32 v6, 0 :: v_dual_mov_b32 v7, v8
	v_mov_b32_e32 v4, v12
	v_mov_b32_e32 v14, v0
	s_lshl_b64 s[4:5], s[6:7], 2
	s_mov_b32 s21, 0
	s_wait_alu 0xfffe
	s_add_nc_u64 s[4:5], s[12:13], s[4:5]
.LBB25_10:                              ;   Parent Loop BB25_8 Depth=1
                                        ; =>  This Inner Loop Header: Depth=2
	v_ashrrev_i32_e32 v5, 31, v4
	v_add_nc_u32_e32 v14, 64, v14
	s_delay_alu instid0(VALU_DEP_2) | instskip(SKIP_2) | instid1(VALU_DEP_2)
	v_lshlrev_b64_e32 v[15:16], 2, v[4:5]
	v_add_nc_u32_e32 v4, s19, v4
	s_wait_alu 0xfffe
	v_add_co_u32 v15, vcc_lo, s4, v15
	s_wait_alu 0xfffd
	s_delay_alu instid0(VALU_DEP_3)
	v_add_co_ci_u32_e64 v16, null, s5, v16, vcc_lo
	v_cmp_le_i32_e32 vcc_lo, s10, v14
	global_load_b32 v5, v[15:16], off
	ds_load_b32 v15, v7
	v_add_nc_u32_e32 v7, 0x100, v7
	s_or_b32 s21, vcc_lo, s21
	s_wait_loadcnt_dscnt 0x0
	v_fmac_f32_e32 v6, v15, v5
	s_and_not1_b32 exec_lo, exec_lo, s21
	s_cbranch_execnz .LBB25_10
; %bb.11:                               ;   in Loop: Header=BB25_8 Depth=1
	s_or_b32 exec_lo, exec_lo, s21
.LBB25_12:                              ;   in Loop: Header=BB25_8 Depth=1
	s_delay_alu instid0(SALU_CYCLE_1) | instskip(NEXT) | instid1(SALU_CYCLE_1)
	s_or_b32 exec_lo, exec_lo, s20
	s_and_b32 vcc_lo, exec_lo, s18
	s_wait_alu 0xfffe
	s_cbranch_vccz .LBB25_19
; %bb.13:                               ;   in Loop: Header=BB25_8 Depth=1
	v_cmp_ne_u32_e32 vcc_lo, 31, v10
	s_wait_alu 0xfffd
	v_add_co_ci_u32_e64 v4, null, 0, v10, vcc_lo
	v_cmp_gt_u32_e32 vcc_lo, 30, v10
	s_delay_alu instid0(VALU_DEP_2)
	v_lshlrev_b32_e32 v4, 2, v4
	s_wait_alu 0xfffd
	v_cndmask_b32_e64 v5, 0, 2, vcc_lo
	v_cmp_gt_u32_e32 vcc_lo, 28, v10
	ds_bpermute_b32 v4, v4, v6
	v_add_lshl_u32 v5, v5, v10, 2
	s_wait_alu 0xfffd
	v_cndmask_b32_e64 v7, 0, 4, vcc_lo
	v_cmp_gt_u32_e32 vcc_lo, 24, v10
	s_delay_alu instid0(VALU_DEP_2)
	v_add_lshl_u32 v7, v7, v10, 2
	s_wait_dscnt 0x0
	v_add_f32_e32 v4, v6, v4
	ds_bpermute_b32 v5, v5, v4
	s_wait_dscnt 0x0
	v_add_f32_e32 v4, v4, v5
	ds_bpermute_b32 v5, v7, v4
	s_wait_alu 0xfffd
	v_cndmask_b32_e64 v7, 0, 8, vcc_lo
	s_wait_dscnt 0x0
	v_add_f32_e32 v4, v4, v5
	s_delay_alu instid0(VALU_DEP_2)
	v_add_lshl_u32 v5, v7, v10, 2
	ds_bpermute_b32 v5, v5, v4
	s_wait_dscnt 0x0
	v_add_f32_e32 v4, v4, v5
	ds_bpermute_b32 v5, v11, v4
	s_wait_dscnt 0x0
	v_add_f32_e32 v5, v4, v5
	s_and_saveexec_b32 s4, s3
; %bb.14:                               ;   in Loop: Header=BB25_8 Depth=1
	ds_store_b32 v9, v5 offset:8192
; %bb.15:                               ;   in Loop: Header=BB25_8 Depth=1
	s_wait_alu 0xfffe
	s_or_b32 exec_lo, exec_lo, s4
	s_mov_b32 s5, 0
	s_mov_b32 s4, 0
	s_wait_loadcnt_dscnt 0x0
	s_barrier_signal -1
	s_barrier_wait -1
	global_inv scope:SCOPE_SE
                                        ; implicit-def: $vgpr4
	s_and_saveexec_b32 s20, s1
	s_delay_alu instid0(SALU_CYCLE_1)
	s_xor_b32 s20, exec_lo, s20
	s_cbranch_execz .LBB25_17
; %bb.16:                               ;   in Loop: Header=BB25_8 Depth=1
	ds_load_b32 v4, v13 offset:8196
	s_mov_b32 s4, exec_lo
	s_wait_dscnt 0x0
	v_add_f32_e32 v4, v5, v4
.LBB25_17:                              ;   in Loop: Header=BB25_8 Depth=1
	s_or_b32 exec_lo, exec_lo, s20
	s_wait_alu 0xfffe
	s_and_b32 vcc_lo, exec_lo, s5
	s_wait_alu 0xfffe
	s_cbranch_vccnz .LBB25_20
.LBB25_18:                              ;   in Loop: Header=BB25_8 Depth=1
	v_mov_b32_e32 v6, v4
	s_wait_alu 0xfffe
	s_and_saveexec_b32 s5, s4
	s_cbranch_execnz .LBB25_21
	s_branch .LBB25_22
.LBB25_19:                              ;   in Loop: Header=BB25_8 Depth=1
	s_mov_b32 s4, 0
                                        ; implicit-def: $vgpr4
	s_cbranch_execz .LBB25_18
.LBB25_20:                              ;   in Loop: Header=BB25_8 Depth=1
	s_wait_alu 0xfffe
	s_and_not1_b32 s4, s4, exec_lo
	s_and_b32 s5, s1, exec_lo
	s_wait_alu 0xfffe
	s_or_b32 s4, s4, s5
	s_wait_alu 0xfffe
	s_and_saveexec_b32 s5, s4
.LBB25_21:                              ;   in Loop: Header=BB25_8 Depth=1
	ds_store_b32 v13, v6 offset:8192
.LBB25_22:                              ;   in Loop: Header=BB25_8 Depth=1
	s_wait_alu 0xfffe
	s_or_b32 exec_lo, exec_lo, s5
	s_wait_loadcnt_dscnt 0x0
	s_barrier_signal -1
	s_barrier_wait -1
	global_inv scope:SCOPE_SE
	s_and_saveexec_b32 s5, s2
	s_cbranch_execz .LBB25_7
; %bb.23:                               ;   in Loop: Header=BB25_8 Depth=1
	global_load_b32 v4, v13, s[14:15]
	ds_load_b32 v6, v13 offset:8192
	v_mov_b32_e32 v14, v8
	s_mov_b32 s20, 0
	s_wait_loadcnt 0x0
	v_xor_b32_e32 v7, 0x80000000, v4
	v_dual_mov_b32 v5, v3 :: v_dual_mov_b32 v4, v2
	s_wait_dscnt 0x0
	s_delay_alu instid0(VALU_DEP_2)
	v_mul_f32_e32 v15, v6, v7
	v_dual_mov_b32 v7, v1 :: v_dual_mov_b32 v6, v0
.LBB25_24:                              ;   Parent Loop BB25_8 Depth=1
                                        ; =>  This Inner Loop Header: Depth=2
	global_load_b32 v16, v[4:5], off
	ds_load_b32 v17, v14
	v_add_co_u32 v6, vcc_lo, v6, 64
	s_wait_alu 0xfffd
	v_add_co_ci_u32_e64 v7, null, 0, v7, vcc_lo
	v_add_nc_u32_e32 v14, 0x100, v14
	s_delay_alu instid0(VALU_DEP_2)
	v_cmp_le_i64_e32 vcc_lo, s[10:11], v[6:7]
	s_or_b32 s20, vcc_lo, s20
	s_wait_loadcnt_dscnt 0x0
	v_fmac_f32_e32 v16, v15, v17
	global_store_b32 v[4:5], v16, off
	v_add_co_u32 v4, s4, v4, s16
	s_wait_alu 0xf1ff
	v_add_co_ci_u32_e64 v5, null, s17, v5, s4
	s_and_not1_b32 exec_lo, exec_lo, s20
	s_cbranch_execnz .LBB25_24
	s_branch .LBB25_7
.LBB25_25:
	s_endpgm
	.section	.rodata,"a",@progbits
	.p2align	6, 0x0
	.amdhsa_kernel _ZN9rocsolver6v33100L23larf_right_kernel_smallILi64EflPfEEvT1_S3_T2_lS3_lPKT0_lS4_lS3_l
		.amdhsa_group_segment_fixed_size 8200
		.amdhsa_private_segment_fixed_size 0
		.amdhsa_kernarg_size 96
		.amdhsa_user_sgpr_count 2
		.amdhsa_user_sgpr_dispatch_ptr 0
		.amdhsa_user_sgpr_queue_ptr 0
		.amdhsa_user_sgpr_kernarg_segment_ptr 1
		.amdhsa_user_sgpr_dispatch_id 0
		.amdhsa_user_sgpr_private_segment_size 0
		.amdhsa_wavefront_size32 1
		.amdhsa_uses_dynamic_stack 0
		.amdhsa_enable_private_segment 0
		.amdhsa_system_sgpr_workgroup_id_x 1
		.amdhsa_system_sgpr_workgroup_id_y 1
		.amdhsa_system_sgpr_workgroup_id_z 0
		.amdhsa_system_sgpr_workgroup_info 0
		.amdhsa_system_vgpr_workitem_id 0
		.amdhsa_next_free_vgpr 169
		.amdhsa_next_free_sgpr 26
		.amdhsa_reserve_vcc 1
		.amdhsa_float_round_mode_32 0
		.amdhsa_float_round_mode_16_64 0
		.amdhsa_float_denorm_mode_32 3
		.amdhsa_float_denorm_mode_16_64 3
		.amdhsa_fp16_overflow 0
		.amdhsa_workgroup_processor_mode 1
		.amdhsa_memory_ordered 1
		.amdhsa_forward_progress 1
		.amdhsa_inst_pref_size 11
		.amdhsa_round_robin_scheduling 0
		.amdhsa_exception_fp_ieee_invalid_op 0
		.amdhsa_exception_fp_denorm_src 0
		.amdhsa_exception_fp_ieee_div_zero 0
		.amdhsa_exception_fp_ieee_overflow 0
		.amdhsa_exception_fp_ieee_underflow 0
		.amdhsa_exception_fp_ieee_inexact 0
		.amdhsa_exception_int_div_zero 0
	.end_amdhsa_kernel
	.section	.text._ZN9rocsolver6v33100L23larf_right_kernel_smallILi64EflPfEEvT1_S3_T2_lS3_lPKT0_lS4_lS3_l,"axG",@progbits,_ZN9rocsolver6v33100L23larf_right_kernel_smallILi64EflPfEEvT1_S3_T2_lS3_lPKT0_lS4_lS3_l,comdat
.Lfunc_end25:
	.size	_ZN9rocsolver6v33100L23larf_right_kernel_smallILi64EflPfEEvT1_S3_T2_lS3_lPKT0_lS4_lS3_l, .Lfunc_end25-_ZN9rocsolver6v33100L23larf_right_kernel_smallILi64EflPfEEvT1_S3_T2_lS3_lPKT0_lS4_lS3_l
                                        ; -- End function
	.set _ZN9rocsolver6v33100L23larf_right_kernel_smallILi64EflPfEEvT1_S3_T2_lS3_lPKT0_lS4_lS3_l.num_vgpr, 18
	.set _ZN9rocsolver6v33100L23larf_right_kernel_smallILi64EflPfEEvT1_S3_T2_lS3_lPKT0_lS4_lS3_l.num_agpr, 0
	.set _ZN9rocsolver6v33100L23larf_right_kernel_smallILi64EflPfEEvT1_S3_T2_lS3_lPKT0_lS4_lS3_l.numbered_sgpr, 26
	.set _ZN9rocsolver6v33100L23larf_right_kernel_smallILi64EflPfEEvT1_S3_T2_lS3_lPKT0_lS4_lS3_l.num_named_barrier, 0
	.set _ZN9rocsolver6v33100L23larf_right_kernel_smallILi64EflPfEEvT1_S3_T2_lS3_lPKT0_lS4_lS3_l.private_seg_size, 0
	.set _ZN9rocsolver6v33100L23larf_right_kernel_smallILi64EflPfEEvT1_S3_T2_lS3_lPKT0_lS4_lS3_l.uses_vcc, 1
	.set _ZN9rocsolver6v33100L23larf_right_kernel_smallILi64EflPfEEvT1_S3_T2_lS3_lPKT0_lS4_lS3_l.uses_flat_scratch, 0
	.set _ZN9rocsolver6v33100L23larf_right_kernel_smallILi64EflPfEEvT1_S3_T2_lS3_lPKT0_lS4_lS3_l.has_dyn_sized_stack, 0
	.set _ZN9rocsolver6v33100L23larf_right_kernel_smallILi64EflPfEEvT1_S3_T2_lS3_lPKT0_lS4_lS3_l.has_recursion, 0
	.set _ZN9rocsolver6v33100L23larf_right_kernel_smallILi64EflPfEEvT1_S3_T2_lS3_lPKT0_lS4_lS3_l.has_indirect_call, 0
	.section	.AMDGPU.csdata,"",@progbits
; Kernel info:
; codeLenInByte = 1316
; TotalNumSgprs: 28
; NumVgprs: 18
; ScratchSize: 0
; MemoryBound: 0
; FloatMode: 240
; IeeeMode: 1
; LDSByteSize: 8200 bytes/workgroup (compile time only)
; SGPRBlocks: 0
; VGPRBlocks: 21
; NumSGPRsForWavesPerEU: 28
; NumVGPRsForWavesPerEU: 169
; Occupancy: 8
; WaveLimiterHint : 0
; COMPUTE_PGM_RSRC2:SCRATCH_EN: 0
; COMPUTE_PGM_RSRC2:USER_SGPR: 2
; COMPUTE_PGM_RSRC2:TRAP_HANDLER: 0
; COMPUTE_PGM_RSRC2:TGID_X_EN: 1
; COMPUTE_PGM_RSRC2:TGID_Y_EN: 1
; COMPUTE_PGM_RSRC2:TGID_Z_EN: 0
; COMPUTE_PGM_RSRC2:TIDIG_COMP_CNT: 0
	.section	.text._ZN9rocsolver6v33100L23larf_right_kernel_smallILi128EflPfEEvT1_S3_T2_lS3_lPKT0_lS4_lS3_l,"axG",@progbits,_ZN9rocsolver6v33100L23larf_right_kernel_smallILi128EflPfEEvT1_S3_T2_lS3_lPKT0_lS4_lS3_l,comdat
	.globl	_ZN9rocsolver6v33100L23larf_right_kernel_smallILi128EflPfEEvT1_S3_T2_lS3_lPKT0_lS4_lS3_l ; -- Begin function _ZN9rocsolver6v33100L23larf_right_kernel_smallILi128EflPfEEvT1_S3_T2_lS3_lPKT0_lS4_lS3_l
	.p2align	8
	.type	_ZN9rocsolver6v33100L23larf_right_kernel_smallILi128EflPfEEvT1_S3_T2_lS3_lPKT0_lS4_lS3_l,@function
_ZN9rocsolver6v33100L23larf_right_kernel_smallILi128EflPfEEvT1_S3_T2_lS3_lPKT0_lS4_lS3_l: ; @_ZN9rocsolver6v33100L23larf_right_kernel_smallILi128EflPfEEvT1_S3_T2_lS3_lPKT0_lS4_lS3_l
; %bb.0:
	s_load_b512 s[8:23], s[0:1], 0x0
	s_mov_b32 s4, ttmp9
	s_mov_b64 s[6:7], 0
	s_wait_kmcnt 0x0
	v_cmp_gt_i64_e64 s2, s[16:17], 0
	s_and_b32 vcc_lo, exec_lo, s2
	s_cbranch_vccnz .LBB26_2
; %bb.1:
	s_sub_nc_u64 s[2:3], 1, s[10:11]
	s_delay_alu instid0(SALU_CYCLE_1)
	s_mul_u64 s[6:7], s[16:17], s[2:3]
.LBB26_2:
	v_dual_mov_b32 v1, 0 :: v_dual_lshlrev_b32 v8, 2, v0
	s_mov_b32 s5, 0
	s_delay_alu instid0(VALU_DEP_1)
	v_cmp_gt_i64_e64 s2, s[10:11], v[0:1]
	s_and_saveexec_b32 s24, s2
	s_cbranch_execz .LBB26_5
; %bb.3:
	v_mad_co_u64_u32 v[2:3], null, s16, v0, 0
	s_lshl_b64 s[14:15], s[14:15], 2
	s_mul_u64 s[18:19], s[18:19], s[4:5]
	s_lshl_b64 s[6:7], s[6:7], 2
	s_add_nc_u64 s[12:13], s[12:13], s[14:15]
	s_lshl_b64 s[14:15], s[18:19], 2
	s_add_nc_u64 s[6:7], s[12:13], s[6:7]
	v_mad_co_u64_u32 v[3:4], null, s17, v0, v[3:4]
	s_add_nc_u64 s[6:7], s[6:7], s[14:15]
	v_dual_mov_b32 v5, v1 :: v_dual_lshlrev_b32 v6, 2, v0
	v_mov_b32_e32 v4, v0
	s_mov_b32 s12, s5
	v_lshlrev_b64_e32 v[2:3], 2, v[2:3]
	s_delay_alu instid0(VALU_DEP_1) | instskip(NEXT) | instid1(VALU_DEP_1)
	v_add_co_u32 v2, vcc_lo, s6, v2
	v_add_co_ci_u32_e64 v3, null, s7, v3, vcc_lo
	s_lshl_b64 s[6:7], s[16:17], 9
.LBB26_4:                               ; =>This Inner Loop Header: Depth=1
	global_load_b32 v7, v[2:3], off
	v_add_co_u32 v4, vcc_lo, 0x80, v4
	s_wait_alu 0xfffd
	v_add_co_ci_u32_e64 v5, null, 0, v5, vcc_lo
	s_wait_alu 0xfffe
	v_add_co_u32 v2, vcc_lo, v2, s6
	s_wait_alu 0xfffd
	v_add_co_ci_u32_e64 v3, null, s7, v3, vcc_lo
	v_cmp_le_i64_e64 s3, s[10:11], v[4:5]
	s_or_b32 s12, s3, s12
	s_wait_loadcnt 0x0
	ds_store_b32 v6, v7
	v_add_nc_u32_e32 v6, 0x200, v6
	s_and_not1_b32 exec_lo, exec_lo, s12
	s_cbranch_execnz .LBB26_4
.LBB26_5:
	s_or_b32 exec_lo, exec_lo, s24
	s_mov_b32 s6, ttmp7
	s_mov_b32 s7, 0
	s_wait_dscnt 0x0
	s_wait_alu 0xfffe
	v_cmp_le_i64_e64 s3, s[8:9], s[6:7]
	s_barrier_signal -1
	s_barrier_wait -1
	global_inv scope:SCOPE_SE
	s_and_b32 vcc_lo, exec_lo, s3
	s_wait_alu 0xfffe
	s_cbranch_vccnz .LBB26_25
; %bb.6:
	s_load_b256 s[12:19], s[0:1], 0x40
	s_mul_u64 s[22:23], s[22:23], s[4:5]
	v_dual_mov_b32 v14, 0 :: v_dual_and_b32 v5, 31, v0
	s_lshl_b64 s[22:23], s[22:23], 2
	v_mbcnt_lo_u32_b32 v10, -1, 0
	v_cmp_gt_i32_e64 s0, s10, v0
	v_lshrrev_b32_e32 v9, 3, v0
	v_cmp_eq_u32_e64 s1, 0, v0
	v_mov_b32_e32 v11, 0x2004
	v_cmp_eq_u32_e64 s3, 0, v5
	v_lshl_or_b32 v12, v10, 2, 64
	s_wait_kmcnt 0x0
	v_mad_co_u64_u32 v[2:3], null, s16, v0, 0
	s_mul_u64 s[4:5], s[18:19], s[4:5]
	s_lshl_b64 s[14:15], s[14:15], 2
	s_lshl_b64 s[4:5], s[4:5], 2
	s_cmp_gt_i32 s10, 1
	v_mul_lo_u32 v13, v0, s16
	s_cselect_b32 s18, -1, 0
	v_mad_co_u64_u32 v[3:4], null, s17, v0, v[3:4]
	s_lshl_b64 s[24:25], s[6:7], 2
	s_lshl_b32 s19, s16, 7
	s_add_nc_u64 s[24:25], s[12:13], s[24:25]
	s_add_nc_u64 s[12:13], s[12:13], s[4:5]
	;; [unrolled: 1-line block ×4, first 2 shown]
	v_lshlrev_b64_e32 v[2:3], 2, v[2:3]
	s_add_nc_u64 s[4:5], s[24:25], s[4:5]
	s_add_nc_u64 s[14:15], s[20:21], s[22:23]
	s_lshl_b64 s[16:17], s[16:17], 9
	s_delay_alu instid0(VALU_DEP_1)
	v_add_co_u32 v2, vcc_lo, s4, v2
	s_wait_alu 0xfffd
	v_add_co_ci_u32_e64 v3, null, s5, v3, vcc_lo
	s_branch .LBB26_8
.LBB26_7:                               ;   in Loop: Header=BB26_8 Depth=1
	s_wait_alu 0xfffe
	s_or_b32 exec_lo, exec_lo, s5
	s_add_nc_u64 s[6:7], s[6:7], 64
	v_add_co_u32 v2, vcc_lo, 0x100, v2
	s_wait_alu 0xfffe
	v_cmp_ge_i64_e64 s4, s[6:7], s[8:9]
	s_wait_alu 0xfffd
	v_add_co_ci_u32_e64 v3, null, 0, v3, vcc_lo
	s_and_b32 vcc_lo, exec_lo, s4
	s_wait_alu 0xfffe
	s_cbranch_vccnz .LBB26_25
.LBB26_8:                               ; =>This Loop Header: Depth=1
                                        ;     Child Loop BB26_10 Depth 2
                                        ;     Child Loop BB26_24 Depth 2
	v_mov_b32_e32 v6, 0
	s_and_saveexec_b32 s20, s0
	s_cbranch_execz .LBB26_12
; %bb.9:                                ;   in Loop: Header=BB26_8 Depth=1
	v_dual_mov_b32 v6, 0 :: v_dual_mov_b32 v7, v8
	v_dual_mov_b32 v4, v13 :: v_dual_mov_b32 v15, v0
	s_lshl_b64 s[4:5], s[6:7], 2
	s_mov_b32 s21, 0
	s_wait_alu 0xfffe
	s_add_nc_u64 s[4:5], s[12:13], s[4:5]
.LBB26_10:                              ;   Parent Loop BB26_8 Depth=1
                                        ; =>  This Inner Loop Header: Depth=2
	v_ashrrev_i32_e32 v5, 31, v4
	s_delay_alu instid0(VALU_DEP_1) | instskip(SKIP_2) | instid1(VALU_DEP_2)
	v_lshlrev_b64_e32 v[16:17], 2, v[4:5]
	v_add_nc_u32_e32 v4, s19, v4
	s_wait_alu 0xfffe
	v_add_co_u32 v16, vcc_lo, s4, v16
	s_wait_alu 0xfffd
	s_delay_alu instid0(VALU_DEP_3)
	v_add_co_ci_u32_e64 v17, null, s5, v17, vcc_lo
	global_load_b32 v5, v[16:17], off
	ds_load_b32 v16, v7
	v_add_nc_u32_e32 v15, 0x80, v15
	s_wait_loadcnt_dscnt 0x0
	v_dual_fmac_f32 v6, v16, v5 :: v_dual_add_nc_u32 v7, 0x200, v7
	s_delay_alu instid0(VALU_DEP_2) | instskip(SKIP_1) | instid1(SALU_CYCLE_1)
	v_cmp_le_i32_e32 vcc_lo, s10, v15
	s_or_b32 s21, vcc_lo, s21
	s_and_not1_b32 exec_lo, exec_lo, s21
	s_cbranch_execnz .LBB26_10
; %bb.11:                               ;   in Loop: Header=BB26_8 Depth=1
	s_or_b32 exec_lo, exec_lo, s21
.LBB26_12:                              ;   in Loop: Header=BB26_8 Depth=1
	s_delay_alu instid0(SALU_CYCLE_1) | instskip(NEXT) | instid1(SALU_CYCLE_1)
	s_or_b32 exec_lo, exec_lo, s20
	s_and_b32 vcc_lo, exec_lo, s18
	s_wait_alu 0xfffe
	s_cbranch_vccz .LBB26_19
; %bb.13:                               ;   in Loop: Header=BB26_8 Depth=1
	v_cmp_ne_u32_e32 vcc_lo, 31, v10
	s_wait_alu 0xfffd
	v_add_co_ci_u32_e64 v4, null, 0, v10, vcc_lo
	v_cmp_gt_u32_e32 vcc_lo, 30, v10
	s_delay_alu instid0(VALU_DEP_2)
	v_lshlrev_b32_e32 v4, 2, v4
	s_wait_alu 0xfffd
	v_cndmask_b32_e64 v5, 0, 2, vcc_lo
	v_cmp_gt_u32_e32 vcc_lo, 28, v10
	ds_bpermute_b32 v4, v4, v6
	v_add_lshl_u32 v5, v5, v10, 2
	s_wait_alu 0xfffd
	v_cndmask_b32_e64 v7, 0, 4, vcc_lo
	v_cmp_gt_u32_e32 vcc_lo, 24, v10
	s_delay_alu instid0(VALU_DEP_2)
	v_add_lshl_u32 v7, v7, v10, 2
	s_wait_dscnt 0x0
	v_add_f32_e32 v4, v6, v4
	ds_bpermute_b32 v5, v5, v4
	s_wait_dscnt 0x0
	v_add_f32_e32 v4, v4, v5
	ds_bpermute_b32 v5, v7, v4
	s_wait_alu 0xfffd
	v_cndmask_b32_e64 v7, 0, 8, vcc_lo
	s_wait_dscnt 0x0
	v_add_f32_e32 v4, v4, v5
	s_delay_alu instid0(VALU_DEP_2)
	v_add_lshl_u32 v5, v7, v10, 2
	ds_bpermute_b32 v5, v5, v4
	s_wait_dscnt 0x0
	v_add_f32_e32 v4, v4, v5
	ds_bpermute_b32 v5, v12, v4
	s_wait_dscnt 0x0
	v_add_f32_e32 v5, v4, v5
	s_and_saveexec_b32 s4, s3
; %bb.14:                               ;   in Loop: Header=BB26_8 Depth=1
	ds_store_b32 v9, v5 offset:8192
; %bb.15:                               ;   in Loop: Header=BB26_8 Depth=1
	s_wait_alu 0xfffe
	s_or_b32 exec_lo, exec_lo, s4
	s_mov_b32 s5, 0
	s_mov_b32 s4, 0
	s_wait_loadcnt_dscnt 0x0
	s_barrier_signal -1
	s_barrier_wait -1
	global_inv scope:SCOPE_SE
                                        ; implicit-def: $vgpr4
	s_and_saveexec_b32 s20, s1
	s_delay_alu instid0(SALU_CYCLE_1)
	s_xor_b32 s20, exec_lo, s20
	s_cbranch_execz .LBB26_17
; %bb.16:                               ;   in Loop: Header=BB26_8 Depth=1
	ds_load_2addr_b32 v[15:16], v11 offset1:1
	ds_load_b32 v4, v14 offset:8204
	s_mov_b32 s4, exec_lo
	s_wait_dscnt 0x1
	v_add_f32_e32 v5, v5, v15
	s_delay_alu instid0(VALU_DEP_1) | instskip(SKIP_1) | instid1(VALU_DEP_1)
	v_add_f32_e32 v5, v5, v16
	s_wait_dscnt 0x0
	v_add_f32_e32 v4, v5, v4
.LBB26_17:                              ;   in Loop: Header=BB26_8 Depth=1
	s_or_b32 exec_lo, exec_lo, s20
	s_wait_alu 0xfffe
	s_and_b32 vcc_lo, exec_lo, s5
	s_wait_alu 0xfffe
	s_cbranch_vccnz .LBB26_20
.LBB26_18:                              ;   in Loop: Header=BB26_8 Depth=1
	v_mov_b32_e32 v6, v4
	s_wait_alu 0xfffe
	s_and_saveexec_b32 s5, s4
	s_cbranch_execnz .LBB26_21
	s_branch .LBB26_22
.LBB26_19:                              ;   in Loop: Header=BB26_8 Depth=1
	s_mov_b32 s4, 0
                                        ; implicit-def: $vgpr4
	s_cbranch_execz .LBB26_18
.LBB26_20:                              ;   in Loop: Header=BB26_8 Depth=1
	s_wait_alu 0xfffe
	s_and_not1_b32 s4, s4, exec_lo
	s_and_b32 s5, s1, exec_lo
	s_wait_alu 0xfffe
	s_or_b32 s4, s4, s5
	s_wait_alu 0xfffe
	s_and_saveexec_b32 s5, s4
.LBB26_21:                              ;   in Loop: Header=BB26_8 Depth=1
	ds_store_b32 v14, v6 offset:8192
.LBB26_22:                              ;   in Loop: Header=BB26_8 Depth=1
	s_wait_alu 0xfffe
	s_or_b32 exec_lo, exec_lo, s5
	s_wait_loadcnt_dscnt 0x0
	s_barrier_signal -1
	s_barrier_wait -1
	global_inv scope:SCOPE_SE
	s_and_saveexec_b32 s5, s2
	s_cbranch_execz .LBB26_7
; %bb.23:                               ;   in Loop: Header=BB26_8 Depth=1
	global_load_b32 v4, v14, s[14:15]
	ds_load_b32 v6, v14 offset:8192
	v_mov_b32_e32 v15, v8
	s_mov_b32 s20, 0
	s_wait_loadcnt 0x0
	v_xor_b32_e32 v7, 0x80000000, v4
	v_dual_mov_b32 v5, v3 :: v_dual_mov_b32 v4, v2
	s_wait_dscnt 0x0
	s_delay_alu instid0(VALU_DEP_2)
	v_dual_mul_f32 v16, v6, v7 :: v_dual_mov_b32 v7, v1
	v_mov_b32_e32 v6, v0
.LBB26_24:                              ;   Parent Loop BB26_8 Depth=1
                                        ; =>  This Inner Loop Header: Depth=2
	global_load_b32 v17, v[4:5], off
	ds_load_b32 v18, v15
	v_add_co_u32 v6, vcc_lo, 0x80, v6
	s_wait_alu 0xfffd
	v_add_co_ci_u32_e64 v7, null, 0, v7, vcc_lo
	v_add_nc_u32_e32 v15, 0x200, v15
	s_delay_alu instid0(VALU_DEP_2)
	v_cmp_le_i64_e32 vcc_lo, s[10:11], v[6:7]
	s_or_b32 s20, vcc_lo, s20
	s_wait_loadcnt_dscnt 0x0
	v_fmac_f32_e32 v17, v16, v18
	global_store_b32 v[4:5], v17, off
	v_add_co_u32 v4, s4, v4, s16
	s_wait_alu 0xf1ff
	v_add_co_ci_u32_e64 v5, null, s17, v5, s4
	s_and_not1_b32 exec_lo, exec_lo, s20
	s_cbranch_execnz .LBB26_24
	s_branch .LBB26_7
.LBB26_25:
	s_endpgm
	.section	.rodata,"a",@progbits
	.p2align	6, 0x0
	.amdhsa_kernel _ZN9rocsolver6v33100L23larf_right_kernel_smallILi128EflPfEEvT1_S3_T2_lS3_lPKT0_lS4_lS3_l
		.amdhsa_group_segment_fixed_size 8208
		.amdhsa_private_segment_fixed_size 0
		.amdhsa_kernarg_size 96
		.amdhsa_user_sgpr_count 2
		.amdhsa_user_sgpr_dispatch_ptr 0
		.amdhsa_user_sgpr_queue_ptr 0
		.amdhsa_user_sgpr_kernarg_segment_ptr 1
		.amdhsa_user_sgpr_dispatch_id 0
		.amdhsa_user_sgpr_private_segment_size 0
		.amdhsa_wavefront_size32 1
		.amdhsa_uses_dynamic_stack 0
		.amdhsa_enable_private_segment 0
		.amdhsa_system_sgpr_workgroup_id_x 1
		.amdhsa_system_sgpr_workgroup_id_y 1
		.amdhsa_system_sgpr_workgroup_id_z 0
		.amdhsa_system_sgpr_workgroup_info 0
		.amdhsa_system_vgpr_workitem_id 0
		.amdhsa_next_free_vgpr 19
		.amdhsa_next_free_sgpr 26
		.amdhsa_reserve_vcc 1
		.amdhsa_float_round_mode_32 0
		.amdhsa_float_round_mode_16_64 0
		.amdhsa_float_denorm_mode_32 3
		.amdhsa_float_denorm_mode_16_64 3
		.amdhsa_fp16_overflow 0
		.amdhsa_workgroup_processor_mode 1
		.amdhsa_memory_ordered 1
		.amdhsa_forward_progress 1
		.amdhsa_inst_pref_size 11
		.amdhsa_round_robin_scheduling 0
		.amdhsa_exception_fp_ieee_invalid_op 0
		.amdhsa_exception_fp_denorm_src 0
		.amdhsa_exception_fp_ieee_div_zero 0
		.amdhsa_exception_fp_ieee_overflow 0
		.amdhsa_exception_fp_ieee_underflow 0
		.amdhsa_exception_fp_ieee_inexact 0
		.amdhsa_exception_int_div_zero 0
	.end_amdhsa_kernel
	.section	.text._ZN9rocsolver6v33100L23larf_right_kernel_smallILi128EflPfEEvT1_S3_T2_lS3_lPKT0_lS4_lS3_l,"axG",@progbits,_ZN9rocsolver6v33100L23larf_right_kernel_smallILi128EflPfEEvT1_S3_T2_lS3_lPKT0_lS4_lS3_l,comdat
.Lfunc_end26:
	.size	_ZN9rocsolver6v33100L23larf_right_kernel_smallILi128EflPfEEvT1_S3_T2_lS3_lPKT0_lS4_lS3_l, .Lfunc_end26-_ZN9rocsolver6v33100L23larf_right_kernel_smallILi128EflPfEEvT1_S3_T2_lS3_lPKT0_lS4_lS3_l
                                        ; -- End function
	.set _ZN9rocsolver6v33100L23larf_right_kernel_smallILi128EflPfEEvT1_S3_T2_lS3_lPKT0_lS4_lS3_l.num_vgpr, 19
	.set _ZN9rocsolver6v33100L23larf_right_kernel_smallILi128EflPfEEvT1_S3_T2_lS3_lPKT0_lS4_lS3_l.num_agpr, 0
	.set _ZN9rocsolver6v33100L23larf_right_kernel_smallILi128EflPfEEvT1_S3_T2_lS3_lPKT0_lS4_lS3_l.numbered_sgpr, 26
	.set _ZN9rocsolver6v33100L23larf_right_kernel_smallILi128EflPfEEvT1_S3_T2_lS3_lPKT0_lS4_lS3_l.num_named_barrier, 0
	.set _ZN9rocsolver6v33100L23larf_right_kernel_smallILi128EflPfEEvT1_S3_T2_lS3_lPKT0_lS4_lS3_l.private_seg_size, 0
	.set _ZN9rocsolver6v33100L23larf_right_kernel_smallILi128EflPfEEvT1_S3_T2_lS3_lPKT0_lS4_lS3_l.uses_vcc, 1
	.set _ZN9rocsolver6v33100L23larf_right_kernel_smallILi128EflPfEEvT1_S3_T2_lS3_lPKT0_lS4_lS3_l.uses_flat_scratch, 0
	.set _ZN9rocsolver6v33100L23larf_right_kernel_smallILi128EflPfEEvT1_S3_T2_lS3_lPKT0_lS4_lS3_l.has_dyn_sized_stack, 0
	.set _ZN9rocsolver6v33100L23larf_right_kernel_smallILi128EflPfEEvT1_S3_T2_lS3_lPKT0_lS4_lS3_l.has_recursion, 0
	.set _ZN9rocsolver6v33100L23larf_right_kernel_smallILi128EflPfEEvT1_S3_T2_lS3_lPKT0_lS4_lS3_l.has_indirect_call, 0
	.section	.AMDGPU.csdata,"",@progbits
; Kernel info:
; codeLenInByte = 1364
; TotalNumSgprs: 28
; NumVgprs: 19
; ScratchSize: 0
; MemoryBound: 0
; FloatMode: 240
; IeeeMode: 1
; LDSByteSize: 8208 bytes/workgroup (compile time only)
; SGPRBlocks: 0
; VGPRBlocks: 2
; NumSGPRsForWavesPerEU: 28
; NumVGPRsForWavesPerEU: 19
; Occupancy: 15
; WaveLimiterHint : 0
; COMPUTE_PGM_RSRC2:SCRATCH_EN: 0
; COMPUTE_PGM_RSRC2:USER_SGPR: 2
; COMPUTE_PGM_RSRC2:TRAP_HANDLER: 0
; COMPUTE_PGM_RSRC2:TGID_X_EN: 1
; COMPUTE_PGM_RSRC2:TGID_Y_EN: 1
; COMPUTE_PGM_RSRC2:TGID_Z_EN: 0
; COMPUTE_PGM_RSRC2:TIDIG_COMP_CNT: 0
	.section	.text._ZN9rocsolver6v33100L23larf_right_kernel_smallILi256EflPfEEvT1_S3_T2_lS3_lPKT0_lS4_lS3_l,"axG",@progbits,_ZN9rocsolver6v33100L23larf_right_kernel_smallILi256EflPfEEvT1_S3_T2_lS3_lPKT0_lS4_lS3_l,comdat
	.globl	_ZN9rocsolver6v33100L23larf_right_kernel_smallILi256EflPfEEvT1_S3_T2_lS3_lPKT0_lS4_lS3_l ; -- Begin function _ZN9rocsolver6v33100L23larf_right_kernel_smallILi256EflPfEEvT1_S3_T2_lS3_lPKT0_lS4_lS3_l
	.p2align	8
	.type	_ZN9rocsolver6v33100L23larf_right_kernel_smallILi256EflPfEEvT1_S3_T2_lS3_lPKT0_lS4_lS3_l,@function
_ZN9rocsolver6v33100L23larf_right_kernel_smallILi256EflPfEEvT1_S3_T2_lS3_lPKT0_lS4_lS3_l: ; @_ZN9rocsolver6v33100L23larf_right_kernel_smallILi256EflPfEEvT1_S3_T2_lS3_lPKT0_lS4_lS3_l
; %bb.0:
	s_load_b512 s[8:23], s[0:1], 0x0
	s_mov_b32 s4, ttmp9
	s_mov_b64 s[6:7], 0
	s_wait_kmcnt 0x0
	v_cmp_gt_i64_e64 s2, s[16:17], 0
	s_and_b32 vcc_lo, exec_lo, s2
	s_cbranch_vccnz .LBB27_2
; %bb.1:
	s_sub_nc_u64 s[2:3], 1, s[10:11]
	s_delay_alu instid0(SALU_CYCLE_1)
	s_mul_u64 s[6:7], s[16:17], s[2:3]
.LBB27_2:
	v_dual_mov_b32 v1, 0 :: v_dual_lshlrev_b32 v8, 2, v0
	s_mov_b32 s5, 0
	s_delay_alu instid0(VALU_DEP_1)
	v_cmp_gt_i64_e64 s2, s[10:11], v[0:1]
	s_and_saveexec_b32 s24, s2
	s_cbranch_execz .LBB27_5
; %bb.3:
	v_mad_co_u64_u32 v[2:3], null, s16, v0, 0
	s_lshl_b64 s[14:15], s[14:15], 2
	s_mul_u64 s[18:19], s[18:19], s[4:5]
	s_lshl_b64 s[6:7], s[6:7], 2
	s_add_nc_u64 s[12:13], s[12:13], s[14:15]
	s_lshl_b64 s[14:15], s[18:19], 2
	s_add_nc_u64 s[6:7], s[12:13], s[6:7]
	v_mad_co_u64_u32 v[3:4], null, s17, v0, v[3:4]
	s_add_nc_u64 s[6:7], s[6:7], s[14:15]
	v_dual_mov_b32 v5, v1 :: v_dual_lshlrev_b32 v6, 2, v0
	v_mov_b32_e32 v4, v0
	s_mov_b32 s12, s5
	v_lshlrev_b64_e32 v[2:3], 2, v[2:3]
	s_delay_alu instid0(VALU_DEP_1) | instskip(NEXT) | instid1(VALU_DEP_1)
	v_add_co_u32 v2, vcc_lo, s6, v2
	v_add_co_ci_u32_e64 v3, null, s7, v3, vcc_lo
	s_lshl_b64 s[6:7], s[16:17], 10
.LBB27_4:                               ; =>This Inner Loop Header: Depth=1
	global_load_b32 v7, v[2:3], off
	v_add_co_u32 v4, vcc_lo, 0x100, v4
	s_wait_alu 0xfffd
	v_add_co_ci_u32_e64 v5, null, 0, v5, vcc_lo
	s_wait_alu 0xfffe
	v_add_co_u32 v2, vcc_lo, v2, s6
	s_wait_alu 0xfffd
	v_add_co_ci_u32_e64 v3, null, s7, v3, vcc_lo
	v_cmp_le_i64_e64 s3, s[10:11], v[4:5]
	s_or_b32 s12, s3, s12
	s_wait_loadcnt 0x0
	ds_store_b32 v6, v7
	v_add_nc_u32_e32 v6, 0x400, v6
	s_and_not1_b32 exec_lo, exec_lo, s12
	s_cbranch_execnz .LBB27_4
.LBB27_5:
	s_or_b32 exec_lo, exec_lo, s24
	s_mov_b32 s6, ttmp7
	s_mov_b32 s7, 0
	s_wait_dscnt 0x0
	s_wait_alu 0xfffe
	v_cmp_le_i64_e64 s3, s[8:9], s[6:7]
	s_barrier_signal -1
	s_barrier_wait -1
	global_inv scope:SCOPE_SE
	s_and_b32 vcc_lo, exec_lo, s3
	s_wait_alu 0xfffe
	s_cbranch_vccnz .LBB27_25
; %bb.6:
	s_load_b256 s[12:19], s[0:1], 0x40
	s_mul_u64 s[22:23], s[22:23], s[4:5]
	v_dual_mov_b32 v12, 0x200c :: v_dual_and_b32 v5, 31, v0
	s_lshl_b64 s[22:23], s[22:23], 2
	v_mbcnt_lo_u32_b32 v10, -1, 0
	v_cmp_gt_i32_e64 s0, s10, v0
	v_lshrrev_b32_e32 v9, 3, v0
	v_cmp_eq_u32_e64 s1, 0, v0
	v_dual_mov_b32 v11, 0x2004 :: v_dual_mov_b32 v16, 0
	v_mov_b32_e32 v13, 0x2014
	v_cmp_eq_u32_e64 s3, 0, v5
	v_lshl_or_b32 v14, v10, 2, 64
	s_wait_kmcnt 0x0
	v_mad_co_u64_u32 v[2:3], null, s16, v0, 0
	s_mul_u64 s[4:5], s[18:19], s[4:5]
	s_lshl_b64 s[14:15], s[14:15], 2
	s_lshl_b64 s[4:5], s[4:5], 2
	s_cmp_gt_i32 s10, 1
	v_mul_lo_u32 v15, v0, s16
	s_cselect_b32 s18, -1, 0
	v_mad_co_u64_u32 v[3:4], null, s17, v0, v[3:4]
	s_lshl_b64 s[24:25], s[6:7], 2
	s_lshl_b32 s19, s16, 8
	s_add_nc_u64 s[24:25], s[12:13], s[24:25]
	s_add_nc_u64 s[12:13], s[12:13], s[4:5]
	;; [unrolled: 1-line block ×4, first 2 shown]
	v_lshlrev_b64_e32 v[2:3], 2, v[2:3]
	s_add_nc_u64 s[4:5], s[24:25], s[4:5]
	s_add_nc_u64 s[14:15], s[20:21], s[22:23]
	s_lshl_b64 s[16:17], s[16:17], 10
	s_delay_alu instid0(VALU_DEP_1)
	v_add_co_u32 v2, vcc_lo, s4, v2
	s_wait_alu 0xfffd
	v_add_co_ci_u32_e64 v3, null, s5, v3, vcc_lo
	s_branch .LBB27_8
.LBB27_7:                               ;   in Loop: Header=BB27_8 Depth=1
	s_wait_alu 0xfffe
	s_or_b32 exec_lo, exec_lo, s5
	s_add_nc_u64 s[6:7], s[6:7], 64
	v_add_co_u32 v2, vcc_lo, 0x100, v2
	s_wait_alu 0xfffe
	v_cmp_ge_i64_e64 s4, s[6:7], s[8:9]
	s_wait_alu 0xfffd
	v_add_co_ci_u32_e64 v3, null, 0, v3, vcc_lo
	s_and_b32 vcc_lo, exec_lo, s4
	s_wait_alu 0xfffe
	s_cbranch_vccnz .LBB27_25
.LBB27_8:                               ; =>This Loop Header: Depth=1
                                        ;     Child Loop BB27_10 Depth 2
                                        ;     Child Loop BB27_24 Depth 2
	v_mov_b32_e32 v6, 0
	s_and_saveexec_b32 s20, s0
	s_cbranch_execz .LBB27_12
; %bb.9:                                ;   in Loop: Header=BB27_8 Depth=1
	v_dual_mov_b32 v6, 0 :: v_dual_mov_b32 v7, v8
	v_dual_mov_b32 v4, v15 :: v_dual_mov_b32 v17, v0
	s_lshl_b64 s[4:5], s[6:7], 2
	s_mov_b32 s21, 0
	s_wait_alu 0xfffe
	s_add_nc_u64 s[4:5], s[12:13], s[4:5]
.LBB27_10:                              ;   Parent Loop BB27_8 Depth=1
                                        ; =>  This Inner Loop Header: Depth=2
	v_ashrrev_i32_e32 v5, 31, v4
	v_add_nc_u32_e32 v17, 0x100, v17
	s_delay_alu instid0(VALU_DEP_2) | instskip(SKIP_2) | instid1(VALU_DEP_2)
	v_lshlrev_b64_e32 v[18:19], 2, v[4:5]
	v_add_nc_u32_e32 v4, s19, v4
	s_wait_alu 0xfffe
	v_add_co_u32 v18, vcc_lo, s4, v18
	s_wait_alu 0xfffd
	s_delay_alu instid0(VALU_DEP_3)
	v_add_co_ci_u32_e64 v19, null, s5, v19, vcc_lo
	v_cmp_le_i32_e32 vcc_lo, s10, v17
	global_load_b32 v5, v[18:19], off
	ds_load_b32 v18, v7
	v_add_nc_u32_e32 v7, 0x400, v7
	s_or_b32 s21, vcc_lo, s21
	s_wait_loadcnt_dscnt 0x0
	v_fmac_f32_e32 v6, v18, v5
	s_and_not1_b32 exec_lo, exec_lo, s21
	s_cbranch_execnz .LBB27_10
; %bb.11:                               ;   in Loop: Header=BB27_8 Depth=1
	s_or_b32 exec_lo, exec_lo, s21
.LBB27_12:                              ;   in Loop: Header=BB27_8 Depth=1
	s_delay_alu instid0(SALU_CYCLE_1) | instskip(NEXT) | instid1(SALU_CYCLE_1)
	s_or_b32 exec_lo, exec_lo, s20
	s_and_b32 vcc_lo, exec_lo, s18
	s_wait_alu 0xfffe
	s_cbranch_vccz .LBB27_19
; %bb.13:                               ;   in Loop: Header=BB27_8 Depth=1
	v_cmp_ne_u32_e32 vcc_lo, 31, v10
	s_wait_alu 0xfffd
	v_add_co_ci_u32_e64 v4, null, 0, v10, vcc_lo
	v_cmp_gt_u32_e32 vcc_lo, 30, v10
	s_delay_alu instid0(VALU_DEP_2)
	v_lshlrev_b32_e32 v4, 2, v4
	s_wait_alu 0xfffd
	v_cndmask_b32_e64 v5, 0, 2, vcc_lo
	v_cmp_gt_u32_e32 vcc_lo, 28, v10
	ds_bpermute_b32 v4, v4, v6
	v_add_lshl_u32 v5, v5, v10, 2
	s_wait_alu 0xfffd
	v_cndmask_b32_e64 v7, 0, 4, vcc_lo
	v_cmp_gt_u32_e32 vcc_lo, 24, v10
	s_delay_alu instid0(VALU_DEP_2)
	v_add_lshl_u32 v7, v7, v10, 2
	s_wait_dscnt 0x0
	v_add_f32_e32 v4, v6, v4
	ds_bpermute_b32 v5, v5, v4
	s_wait_dscnt 0x0
	v_add_f32_e32 v4, v4, v5
	ds_bpermute_b32 v5, v7, v4
	s_wait_alu 0xfffd
	v_cndmask_b32_e64 v7, 0, 8, vcc_lo
	s_wait_dscnt 0x0
	v_add_f32_e32 v4, v4, v5
	s_delay_alu instid0(VALU_DEP_2)
	v_add_lshl_u32 v5, v7, v10, 2
	ds_bpermute_b32 v5, v5, v4
	s_wait_dscnt 0x0
	v_add_f32_e32 v4, v4, v5
	ds_bpermute_b32 v5, v14, v4
	s_wait_dscnt 0x0
	v_add_f32_e32 v4, v4, v5
	s_and_saveexec_b32 s4, s3
; %bb.14:                               ;   in Loop: Header=BB27_8 Depth=1
	ds_store_b32 v9, v4 offset:8192
; %bb.15:                               ;   in Loop: Header=BB27_8 Depth=1
	s_wait_alu 0xfffe
	s_or_b32 exec_lo, exec_lo, s4
	s_mov_b32 s5, 0
	s_mov_b32 s4, 0
	s_wait_loadcnt_dscnt 0x0
	s_barrier_signal -1
	s_barrier_wait -1
	global_inv scope:SCOPE_SE
                                        ; implicit-def: $vgpr5
	s_and_saveexec_b32 s20, s1
	s_delay_alu instid0(SALU_CYCLE_1)
	s_xor_b32 s20, exec_lo, s20
	s_cbranch_execz .LBB27_17
; %bb.16:                               ;   in Loop: Header=BB27_8 Depth=1
	ds_load_2addr_b32 v[17:18], v11 offset1:1
	ds_load_2addr_b32 v[19:20], v12 offset1:1
	;; [unrolled: 1-line block ×3, first 2 shown]
	ds_load_b32 v5, v16 offset:8220
	s_mov_b32 s4, exec_lo
	s_wait_dscnt 0x3
	v_add_f32_e32 v4, v4, v17
	s_delay_alu instid0(VALU_DEP_1) | instskip(SKIP_1) | instid1(VALU_DEP_1)
	v_add_f32_e32 v4, v4, v18
	s_wait_dscnt 0x2
	v_add_f32_e32 v4, v4, v19
	s_delay_alu instid0(VALU_DEP_1) | instskip(SKIP_1) | instid1(VALU_DEP_1)
	v_add_f32_e32 v4, v4, v20
	;; [unrolled: 4-line block ×3, first 2 shown]
	s_wait_dscnt 0x0
	v_add_f32_e32 v5, v4, v5
.LBB27_17:                              ;   in Loop: Header=BB27_8 Depth=1
	s_or_b32 exec_lo, exec_lo, s20
	s_wait_alu 0xfffe
	s_and_b32 vcc_lo, exec_lo, s5
	s_wait_alu 0xfffe
	s_cbranch_vccnz .LBB27_20
.LBB27_18:                              ;   in Loop: Header=BB27_8 Depth=1
	v_mov_b32_e32 v6, v5
	s_wait_alu 0xfffe
	s_and_saveexec_b32 s5, s4
	s_cbranch_execnz .LBB27_21
	s_branch .LBB27_22
.LBB27_19:                              ;   in Loop: Header=BB27_8 Depth=1
	s_mov_b32 s4, 0
                                        ; implicit-def: $vgpr5
	s_cbranch_execz .LBB27_18
.LBB27_20:                              ;   in Loop: Header=BB27_8 Depth=1
	s_wait_alu 0xfffe
	s_and_not1_b32 s4, s4, exec_lo
	s_and_b32 s5, s1, exec_lo
	s_wait_alu 0xfffe
	s_or_b32 s4, s4, s5
	s_wait_alu 0xfffe
	s_and_saveexec_b32 s5, s4
.LBB27_21:                              ;   in Loop: Header=BB27_8 Depth=1
	ds_store_b32 v16, v6 offset:8192
.LBB27_22:                              ;   in Loop: Header=BB27_8 Depth=1
	s_wait_alu 0xfffe
	s_or_b32 exec_lo, exec_lo, s5
	s_wait_loadcnt_dscnt 0x0
	s_barrier_signal -1
	s_barrier_wait -1
	global_inv scope:SCOPE_SE
	s_and_saveexec_b32 s5, s2
	s_cbranch_execz .LBB27_7
; %bb.23:                               ;   in Loop: Header=BB27_8 Depth=1
	global_load_b32 v4, v16, s[14:15]
	ds_load_b32 v6, v16 offset:8192
	v_mov_b32_e32 v17, v8
	s_mov_b32 s20, 0
	s_wait_loadcnt 0x0
	v_xor_b32_e32 v7, 0x80000000, v4
	v_dual_mov_b32 v5, v3 :: v_dual_mov_b32 v4, v2
	s_wait_dscnt 0x0
	s_delay_alu instid0(VALU_DEP_2)
	v_dual_mul_f32 v18, v6, v7 :: v_dual_mov_b32 v7, v1
	v_mov_b32_e32 v6, v0
.LBB27_24:                              ;   Parent Loop BB27_8 Depth=1
                                        ; =>  This Inner Loop Header: Depth=2
	global_load_b32 v19, v[4:5], off
	ds_load_b32 v20, v17
	v_add_co_u32 v6, vcc_lo, 0x100, v6
	s_wait_alu 0xfffd
	v_add_co_ci_u32_e64 v7, null, 0, v7, vcc_lo
	v_add_nc_u32_e32 v17, 0x400, v17
	s_delay_alu instid0(VALU_DEP_2)
	v_cmp_le_i64_e32 vcc_lo, s[10:11], v[6:7]
	s_or_b32 s20, vcc_lo, s20
	s_wait_loadcnt_dscnt 0x0
	v_fmac_f32_e32 v19, v18, v20
	global_store_b32 v[4:5], v19, off
	v_add_co_u32 v4, s4, v4, s16
	s_wait_alu 0xf1ff
	v_add_co_ci_u32_e64 v5, null, s17, v5, s4
	s_and_not1_b32 exec_lo, exec_lo, s20
	s_cbranch_execnz .LBB27_24
	s_branch .LBB27_7
.LBB27_25:
	s_endpgm
	.section	.rodata,"a",@progbits
	.p2align	6, 0x0
	.amdhsa_kernel _ZN9rocsolver6v33100L23larf_right_kernel_smallILi256EflPfEEvT1_S3_T2_lS3_lPKT0_lS4_lS3_l
		.amdhsa_group_segment_fixed_size 8224
		.amdhsa_private_segment_fixed_size 0
		.amdhsa_kernarg_size 96
		.amdhsa_user_sgpr_count 2
		.amdhsa_user_sgpr_dispatch_ptr 0
		.amdhsa_user_sgpr_queue_ptr 0
		.amdhsa_user_sgpr_kernarg_segment_ptr 1
		.amdhsa_user_sgpr_dispatch_id 0
		.amdhsa_user_sgpr_private_segment_size 0
		.amdhsa_wavefront_size32 1
		.amdhsa_uses_dynamic_stack 0
		.amdhsa_enable_private_segment 0
		.amdhsa_system_sgpr_workgroup_id_x 1
		.amdhsa_system_sgpr_workgroup_id_y 1
		.amdhsa_system_sgpr_workgroup_id_z 0
		.amdhsa_system_sgpr_workgroup_info 0
		.amdhsa_system_vgpr_workitem_id 0
		.amdhsa_next_free_vgpr 23
		.amdhsa_next_free_sgpr 26
		.amdhsa_reserve_vcc 1
		.amdhsa_float_round_mode_32 0
		.amdhsa_float_round_mode_16_64 0
		.amdhsa_float_denorm_mode_32 3
		.amdhsa_float_denorm_mode_16_64 3
		.amdhsa_fp16_overflow 0
		.amdhsa_workgroup_processor_mode 1
		.amdhsa_memory_ordered 1
		.amdhsa_forward_progress 1
		.amdhsa_inst_pref_size 12
		.amdhsa_round_robin_scheduling 0
		.amdhsa_exception_fp_ieee_invalid_op 0
		.amdhsa_exception_fp_denorm_src 0
		.amdhsa_exception_fp_ieee_div_zero 0
		.amdhsa_exception_fp_ieee_overflow 0
		.amdhsa_exception_fp_ieee_underflow 0
		.amdhsa_exception_fp_ieee_inexact 0
		.amdhsa_exception_int_div_zero 0
	.end_amdhsa_kernel
	.section	.text._ZN9rocsolver6v33100L23larf_right_kernel_smallILi256EflPfEEvT1_S3_T2_lS3_lPKT0_lS4_lS3_l,"axG",@progbits,_ZN9rocsolver6v33100L23larf_right_kernel_smallILi256EflPfEEvT1_S3_T2_lS3_lPKT0_lS4_lS3_l,comdat
.Lfunc_end27:
	.size	_ZN9rocsolver6v33100L23larf_right_kernel_smallILi256EflPfEEvT1_S3_T2_lS3_lPKT0_lS4_lS3_l, .Lfunc_end27-_ZN9rocsolver6v33100L23larf_right_kernel_smallILi256EflPfEEvT1_S3_T2_lS3_lPKT0_lS4_lS3_l
                                        ; -- End function
	.set _ZN9rocsolver6v33100L23larf_right_kernel_smallILi256EflPfEEvT1_S3_T2_lS3_lPKT0_lS4_lS3_l.num_vgpr, 23
	.set _ZN9rocsolver6v33100L23larf_right_kernel_smallILi256EflPfEEvT1_S3_T2_lS3_lPKT0_lS4_lS3_l.num_agpr, 0
	.set _ZN9rocsolver6v33100L23larf_right_kernel_smallILi256EflPfEEvT1_S3_T2_lS3_lPKT0_lS4_lS3_l.numbered_sgpr, 26
	.set _ZN9rocsolver6v33100L23larf_right_kernel_smallILi256EflPfEEvT1_S3_T2_lS3_lPKT0_lS4_lS3_l.num_named_barrier, 0
	.set _ZN9rocsolver6v33100L23larf_right_kernel_smallILi256EflPfEEvT1_S3_T2_lS3_lPKT0_lS4_lS3_l.private_seg_size, 0
	.set _ZN9rocsolver6v33100L23larf_right_kernel_smallILi256EflPfEEvT1_S3_T2_lS3_lPKT0_lS4_lS3_l.uses_vcc, 1
	.set _ZN9rocsolver6v33100L23larf_right_kernel_smallILi256EflPfEEvT1_S3_T2_lS3_lPKT0_lS4_lS3_l.uses_flat_scratch, 0
	.set _ZN9rocsolver6v33100L23larf_right_kernel_smallILi256EflPfEEvT1_S3_T2_lS3_lPKT0_lS4_lS3_l.has_dyn_sized_stack, 0
	.set _ZN9rocsolver6v33100L23larf_right_kernel_smallILi256EflPfEEvT1_S3_T2_lS3_lPKT0_lS4_lS3_l.has_recursion, 0
	.set _ZN9rocsolver6v33100L23larf_right_kernel_smallILi256EflPfEEvT1_S3_T2_lS3_lPKT0_lS4_lS3_l.has_indirect_call, 0
	.section	.AMDGPU.csdata,"",@progbits
; Kernel info:
; codeLenInByte = 1424
; TotalNumSgprs: 28
; NumVgprs: 23
; ScratchSize: 0
; MemoryBound: 0
; FloatMode: 240
; IeeeMode: 1
; LDSByteSize: 8224 bytes/workgroup (compile time only)
; SGPRBlocks: 0
; VGPRBlocks: 2
; NumSGPRsForWavesPerEU: 28
; NumVGPRsForWavesPerEU: 23
; Occupancy: 16
; WaveLimiterHint : 0
; COMPUTE_PGM_RSRC2:SCRATCH_EN: 0
; COMPUTE_PGM_RSRC2:USER_SGPR: 2
; COMPUTE_PGM_RSRC2:TRAP_HANDLER: 0
; COMPUTE_PGM_RSRC2:TGID_X_EN: 1
; COMPUTE_PGM_RSRC2:TGID_Y_EN: 1
; COMPUTE_PGM_RSRC2:TGID_Z_EN: 0
; COMPUTE_PGM_RSRC2:TIDIG_COMP_CNT: 0
	.section	.text._ZN9rocsolver6v33100L23larf_right_kernel_smallILi512EflPfEEvT1_S3_T2_lS3_lPKT0_lS4_lS3_l,"axG",@progbits,_ZN9rocsolver6v33100L23larf_right_kernel_smallILi512EflPfEEvT1_S3_T2_lS3_lPKT0_lS4_lS3_l,comdat
	.globl	_ZN9rocsolver6v33100L23larf_right_kernel_smallILi512EflPfEEvT1_S3_T2_lS3_lPKT0_lS4_lS3_l ; -- Begin function _ZN9rocsolver6v33100L23larf_right_kernel_smallILi512EflPfEEvT1_S3_T2_lS3_lPKT0_lS4_lS3_l
	.p2align	8
	.type	_ZN9rocsolver6v33100L23larf_right_kernel_smallILi512EflPfEEvT1_S3_T2_lS3_lPKT0_lS4_lS3_l,@function
_ZN9rocsolver6v33100L23larf_right_kernel_smallILi512EflPfEEvT1_S3_T2_lS3_lPKT0_lS4_lS3_l: ; @_ZN9rocsolver6v33100L23larf_right_kernel_smallILi512EflPfEEvT1_S3_T2_lS3_lPKT0_lS4_lS3_l
; %bb.0:
	s_load_b512 s[8:23], s[0:1], 0x0
	s_mov_b32 s4, ttmp9
	s_mov_b64 s[6:7], 0
	s_wait_kmcnt 0x0
	v_cmp_gt_i64_e64 s2, s[16:17], 0
	s_and_b32 vcc_lo, exec_lo, s2
	s_cbranch_vccnz .LBB28_2
; %bb.1:
	s_sub_nc_u64 s[2:3], 1, s[10:11]
	s_delay_alu instid0(SALU_CYCLE_1)
	s_mul_u64 s[6:7], s[16:17], s[2:3]
.LBB28_2:
	v_dual_mov_b32 v1, 0 :: v_dual_lshlrev_b32 v8, 2, v0
	s_mov_b32 s5, 0
	s_delay_alu instid0(VALU_DEP_1)
	v_cmp_gt_i64_e64 s2, s[10:11], v[0:1]
	s_and_saveexec_b32 s24, s2
	s_cbranch_execz .LBB28_5
; %bb.3:
	v_mad_co_u64_u32 v[2:3], null, s16, v0, 0
	s_lshl_b64 s[14:15], s[14:15], 2
	s_mul_u64 s[18:19], s[18:19], s[4:5]
	s_lshl_b64 s[6:7], s[6:7], 2
	s_add_nc_u64 s[12:13], s[12:13], s[14:15]
	s_lshl_b64 s[14:15], s[18:19], 2
	s_add_nc_u64 s[6:7], s[12:13], s[6:7]
	v_mad_co_u64_u32 v[3:4], null, s17, v0, v[3:4]
	s_add_nc_u64 s[6:7], s[6:7], s[14:15]
	v_dual_mov_b32 v5, v1 :: v_dual_lshlrev_b32 v6, 2, v0
	v_mov_b32_e32 v4, v0
	s_mov_b32 s12, s5
	v_lshlrev_b64_e32 v[2:3], 2, v[2:3]
	s_delay_alu instid0(VALU_DEP_1) | instskip(NEXT) | instid1(VALU_DEP_1)
	v_add_co_u32 v2, vcc_lo, s6, v2
	v_add_co_ci_u32_e64 v3, null, s7, v3, vcc_lo
	s_lshl_b64 s[6:7], s[16:17], 11
.LBB28_4:                               ; =>This Inner Loop Header: Depth=1
	global_load_b32 v7, v[2:3], off
	v_add_co_u32 v4, vcc_lo, 0x200, v4
	s_wait_alu 0xfffd
	v_add_co_ci_u32_e64 v5, null, 0, v5, vcc_lo
	s_wait_alu 0xfffe
	v_add_co_u32 v2, vcc_lo, v2, s6
	s_wait_alu 0xfffd
	v_add_co_ci_u32_e64 v3, null, s7, v3, vcc_lo
	v_cmp_le_i64_e64 s3, s[10:11], v[4:5]
	s_or_b32 s12, s3, s12
	s_wait_loadcnt 0x0
	ds_store_b32 v6, v7
	v_add_nc_u32_e32 v6, 0x800, v6
	s_and_not1_b32 exec_lo, exec_lo, s12
	s_cbranch_execnz .LBB28_4
.LBB28_5:
	s_or_b32 exec_lo, exec_lo, s24
	s_mov_b32 s6, ttmp7
	s_mov_b32 s7, 0
	s_wait_dscnt 0x0
	s_wait_alu 0xfffe
	v_cmp_le_i64_e64 s3, s[8:9], s[6:7]
	s_barrier_signal -1
	s_barrier_wait -1
	global_inv scope:SCOPE_SE
	s_and_b32 vcc_lo, exec_lo, s3
	s_wait_alu 0xfffe
	s_cbranch_vccnz .LBB28_25
; %bb.6:
	s_load_b256 s[12:19], s[0:1], 0x40
	s_mul_u64 s[22:23], s[22:23], s[4:5]
	v_dual_mov_b32 v12, 0x200c :: v_dual_and_b32 v5, 31, v0
	s_lshl_b64 s[22:23], s[22:23], 2
	v_mbcnt_lo_u32_b32 v10, -1, 0
	v_cmp_gt_i32_e64 s0, s10, v0
	v_lshrrev_b32_e32 v9, 3, v0
	v_cmp_eq_u32_e64 s1, 0, v0
	v_dual_mov_b32 v11, 0x2004 :: v_dual_mov_b32 v20, 0
	v_mov_b32_e32 v13, 0x2014
	v_mov_b32_e32 v14, 0x201c
	;; [unrolled: 1-line block ×5, first 2 shown]
	v_cmp_eq_u32_e64 s3, 0, v5
	v_lshl_or_b32 v18, v10, 2, 64
	s_wait_kmcnt 0x0
	v_mad_co_u64_u32 v[2:3], null, s16, v0, 0
	s_mul_u64 s[4:5], s[18:19], s[4:5]
	s_lshl_b64 s[14:15], s[14:15], 2
	s_lshl_b64 s[4:5], s[4:5], 2
	s_cmp_gt_i32 s10, 1
	v_mul_lo_u32 v19, v0, s16
	s_cselect_b32 s18, -1, 0
	v_mad_co_u64_u32 v[3:4], null, s17, v0, v[3:4]
	s_lshl_b64 s[24:25], s[6:7], 2
	s_lshl_b32 s19, s16, 9
	s_add_nc_u64 s[24:25], s[12:13], s[24:25]
	s_add_nc_u64 s[12:13], s[12:13], s[4:5]
	;; [unrolled: 1-line block ×4, first 2 shown]
	v_lshlrev_b64_e32 v[2:3], 2, v[2:3]
	s_add_nc_u64 s[4:5], s[24:25], s[4:5]
	s_add_nc_u64 s[14:15], s[20:21], s[22:23]
	s_lshl_b64 s[16:17], s[16:17], 11
	s_delay_alu instid0(VALU_DEP_1)
	v_add_co_u32 v2, vcc_lo, s4, v2
	s_wait_alu 0xfffd
	v_add_co_ci_u32_e64 v3, null, s5, v3, vcc_lo
	s_branch .LBB28_8
.LBB28_7:                               ;   in Loop: Header=BB28_8 Depth=1
	s_wait_alu 0xfffe
	s_or_b32 exec_lo, exec_lo, s5
	s_add_nc_u64 s[6:7], s[6:7], 64
	v_add_co_u32 v2, vcc_lo, 0x100, v2
	s_wait_alu 0xfffe
	v_cmp_ge_i64_e64 s4, s[6:7], s[8:9]
	s_wait_alu 0xfffd
	v_add_co_ci_u32_e64 v3, null, 0, v3, vcc_lo
	s_and_b32 vcc_lo, exec_lo, s4
	s_wait_alu 0xfffe
	s_cbranch_vccnz .LBB28_25
.LBB28_8:                               ; =>This Loop Header: Depth=1
                                        ;     Child Loop BB28_10 Depth 2
                                        ;     Child Loop BB28_24 Depth 2
	v_mov_b32_e32 v6, 0
	s_and_saveexec_b32 s20, s0
	s_cbranch_execz .LBB28_12
; %bb.9:                                ;   in Loop: Header=BB28_8 Depth=1
	v_dual_mov_b32 v6, 0 :: v_dual_mov_b32 v7, v8
	v_dual_mov_b32 v4, v19 :: v_dual_mov_b32 v21, v0
	s_lshl_b64 s[4:5], s[6:7], 2
	s_mov_b32 s21, 0
	s_wait_alu 0xfffe
	s_add_nc_u64 s[4:5], s[12:13], s[4:5]
.LBB28_10:                              ;   Parent Loop BB28_8 Depth=1
                                        ; =>  This Inner Loop Header: Depth=2
	v_ashrrev_i32_e32 v5, 31, v4
	v_add_nc_u32_e32 v21, 0x200, v21
	s_delay_alu instid0(VALU_DEP_2) | instskip(SKIP_2) | instid1(VALU_DEP_2)
	v_lshlrev_b64_e32 v[22:23], 2, v[4:5]
	v_add_nc_u32_e32 v4, s19, v4
	s_wait_alu 0xfffe
	v_add_co_u32 v22, vcc_lo, s4, v22
	s_wait_alu 0xfffd
	s_delay_alu instid0(VALU_DEP_3)
	v_add_co_ci_u32_e64 v23, null, s5, v23, vcc_lo
	v_cmp_le_i32_e32 vcc_lo, s10, v21
	global_load_b32 v5, v[22:23], off
	ds_load_b32 v22, v7
	v_add_nc_u32_e32 v7, 0x800, v7
	s_or_b32 s21, vcc_lo, s21
	s_wait_loadcnt_dscnt 0x0
	v_fmac_f32_e32 v6, v22, v5
	s_and_not1_b32 exec_lo, exec_lo, s21
	s_cbranch_execnz .LBB28_10
; %bb.11:                               ;   in Loop: Header=BB28_8 Depth=1
	s_or_b32 exec_lo, exec_lo, s21
.LBB28_12:                              ;   in Loop: Header=BB28_8 Depth=1
	s_delay_alu instid0(SALU_CYCLE_1) | instskip(NEXT) | instid1(SALU_CYCLE_1)
	s_or_b32 exec_lo, exec_lo, s20
	s_and_b32 vcc_lo, exec_lo, s18
	s_wait_alu 0xfffe
	s_cbranch_vccz .LBB28_19
; %bb.13:                               ;   in Loop: Header=BB28_8 Depth=1
	v_cmp_ne_u32_e32 vcc_lo, 31, v10
	s_wait_alu 0xfffd
	v_add_co_ci_u32_e64 v4, null, 0, v10, vcc_lo
	v_cmp_gt_u32_e32 vcc_lo, 30, v10
	s_delay_alu instid0(VALU_DEP_2)
	v_lshlrev_b32_e32 v4, 2, v4
	s_wait_alu 0xfffd
	v_cndmask_b32_e64 v5, 0, 2, vcc_lo
	v_cmp_gt_u32_e32 vcc_lo, 28, v10
	ds_bpermute_b32 v4, v4, v6
	v_add_lshl_u32 v5, v5, v10, 2
	s_wait_alu 0xfffd
	v_cndmask_b32_e64 v7, 0, 4, vcc_lo
	v_cmp_gt_u32_e32 vcc_lo, 24, v10
	s_delay_alu instid0(VALU_DEP_2)
	v_add_lshl_u32 v7, v7, v10, 2
	s_wait_dscnt 0x0
	v_add_f32_e32 v4, v6, v4
	ds_bpermute_b32 v5, v5, v4
	s_wait_dscnt 0x0
	v_add_f32_e32 v4, v4, v5
	ds_bpermute_b32 v5, v7, v4
	s_wait_alu 0xfffd
	v_cndmask_b32_e64 v7, 0, 8, vcc_lo
	s_wait_dscnt 0x0
	v_add_f32_e32 v4, v4, v5
	s_delay_alu instid0(VALU_DEP_2)
	v_add_lshl_u32 v5, v7, v10, 2
	ds_bpermute_b32 v5, v5, v4
	s_wait_dscnt 0x0
	v_add_f32_e32 v4, v4, v5
	ds_bpermute_b32 v5, v18, v4
	s_wait_dscnt 0x0
	v_add_f32_e32 v4, v4, v5
	s_and_saveexec_b32 s4, s3
; %bb.14:                               ;   in Loop: Header=BB28_8 Depth=1
	ds_store_b32 v9, v4 offset:8192
; %bb.15:                               ;   in Loop: Header=BB28_8 Depth=1
	s_wait_alu 0xfffe
	s_or_b32 exec_lo, exec_lo, s4
	s_mov_b32 s5, 0
	s_mov_b32 s4, 0
	s_wait_loadcnt_dscnt 0x0
	s_barrier_signal -1
	s_barrier_wait -1
	global_inv scope:SCOPE_SE
                                        ; implicit-def: $vgpr5
	s_and_saveexec_b32 s20, s1
	s_delay_alu instid0(SALU_CYCLE_1)
	s_xor_b32 s20, exec_lo, s20
	s_cbranch_execz .LBB28_17
; %bb.16:                               ;   in Loop: Header=BB28_8 Depth=1
	ds_load_2addr_b32 v[21:22], v11 offset1:1
	ds_load_2addr_b32 v[23:24], v12 offset1:1
	;; [unrolled: 1-line block ×4, first 2 shown]
	s_mov_b32 s4, exec_lo
	s_wait_dscnt 0x3
	v_add_f32_e32 v4, v4, v21
	s_delay_alu instid0(VALU_DEP_1) | instskip(SKIP_3) | instid1(VALU_DEP_1)
	v_add_f32_e32 v4, v4, v22
	ds_load_2addr_b32 v[21:22], v16 offset1:1
	s_wait_dscnt 0x3
	v_add_f32_e32 v4, v4, v23
	v_add_f32_e32 v4, v4, v24
	s_wait_dscnt 0x2
	s_delay_alu instid0(VALU_DEP_1)
	v_add_f32_e32 v7, v4, v25
	ds_load_2addr_b32 v[4:5], v15 offset1:1
	ds_load_2addr_b32 v[23:24], v17 offset1:1
	ds_load_b32 v25, v20 offset:8252
	v_add_f32_e32 v7, v7, v26
	s_wait_dscnt 0x4
	s_delay_alu instid0(VALU_DEP_1) | instskip(NEXT) | instid1(VALU_DEP_1)
	v_add_f32_e32 v7, v7, v27
	v_add_f32_e32 v7, v7, v28
	s_wait_dscnt 0x2
	s_delay_alu instid0(VALU_DEP_1) | instskip(NEXT) | instid1(VALU_DEP_1)
	v_add_f32_e32 v4, v7, v4
	v_add_f32_e32 v4, v4, v5
	s_delay_alu instid0(VALU_DEP_1) | instskip(NEXT) | instid1(VALU_DEP_1)
	v_add_f32_e32 v4, v4, v21
	v_add_f32_e32 v4, v4, v22
	s_wait_dscnt 0x1
	s_delay_alu instid0(VALU_DEP_1) | instskip(NEXT) | instid1(VALU_DEP_1)
	v_add_f32_e32 v4, v4, v23
	v_add_f32_e32 v4, v4, v24
	s_wait_dscnt 0x0
	s_delay_alu instid0(VALU_DEP_1)
	v_add_f32_e32 v5, v4, v25
.LBB28_17:                              ;   in Loop: Header=BB28_8 Depth=1
	s_or_b32 exec_lo, exec_lo, s20
	s_wait_alu 0xfffe
	s_and_b32 vcc_lo, exec_lo, s5
	s_wait_alu 0xfffe
	s_cbranch_vccnz .LBB28_20
.LBB28_18:                              ;   in Loop: Header=BB28_8 Depth=1
	v_mov_b32_e32 v6, v5
	s_wait_alu 0xfffe
	s_and_saveexec_b32 s5, s4
	s_cbranch_execnz .LBB28_21
	s_branch .LBB28_22
.LBB28_19:                              ;   in Loop: Header=BB28_8 Depth=1
	s_mov_b32 s4, 0
                                        ; implicit-def: $vgpr5
	s_cbranch_execz .LBB28_18
.LBB28_20:                              ;   in Loop: Header=BB28_8 Depth=1
	s_wait_alu 0xfffe
	s_and_not1_b32 s4, s4, exec_lo
	s_and_b32 s5, s1, exec_lo
	s_wait_alu 0xfffe
	s_or_b32 s4, s4, s5
	s_wait_alu 0xfffe
	s_and_saveexec_b32 s5, s4
.LBB28_21:                              ;   in Loop: Header=BB28_8 Depth=1
	ds_store_b32 v20, v6 offset:8192
.LBB28_22:                              ;   in Loop: Header=BB28_8 Depth=1
	s_wait_alu 0xfffe
	s_or_b32 exec_lo, exec_lo, s5
	s_wait_loadcnt_dscnt 0x0
	s_barrier_signal -1
	s_barrier_wait -1
	global_inv scope:SCOPE_SE
	s_and_saveexec_b32 s5, s2
	s_cbranch_execz .LBB28_7
; %bb.23:                               ;   in Loop: Header=BB28_8 Depth=1
	global_load_b32 v4, v20, s[14:15]
	ds_load_b32 v6, v20 offset:8192
	v_mov_b32_e32 v21, v8
	s_mov_b32 s20, 0
	s_wait_loadcnt 0x0
	v_xor_b32_e32 v7, 0x80000000, v4
	v_dual_mov_b32 v5, v3 :: v_dual_mov_b32 v4, v2
	s_wait_dscnt 0x0
	s_delay_alu instid0(VALU_DEP_2)
	v_dual_mul_f32 v22, v6, v7 :: v_dual_mov_b32 v7, v1
	v_mov_b32_e32 v6, v0
.LBB28_24:                              ;   Parent Loop BB28_8 Depth=1
                                        ; =>  This Inner Loop Header: Depth=2
	global_load_b32 v23, v[4:5], off
	ds_load_b32 v24, v21
	v_add_co_u32 v6, vcc_lo, 0x200, v6
	s_wait_alu 0xfffd
	v_add_co_ci_u32_e64 v7, null, 0, v7, vcc_lo
	v_add_nc_u32_e32 v21, 0x800, v21
	s_delay_alu instid0(VALU_DEP_2)
	v_cmp_le_i64_e32 vcc_lo, s[10:11], v[6:7]
	s_or_b32 s20, vcc_lo, s20
	s_wait_loadcnt_dscnt 0x0
	v_fmac_f32_e32 v23, v22, v24
	global_store_b32 v[4:5], v23, off
	v_add_co_u32 v4, s4, v4, s16
	s_wait_alu 0xf1ff
	v_add_co_ci_u32_e64 v5, null, s17, v5, s4
	s_and_not1_b32 exec_lo, exec_lo, s20
	s_cbranch_execnz .LBB28_24
	s_branch .LBB28_7
.LBB28_25:
	s_endpgm
	.section	.rodata,"a",@progbits
	.p2align	6, 0x0
	.amdhsa_kernel _ZN9rocsolver6v33100L23larf_right_kernel_smallILi512EflPfEEvT1_S3_T2_lS3_lPKT0_lS4_lS3_l
		.amdhsa_group_segment_fixed_size 8256
		.amdhsa_private_segment_fixed_size 0
		.amdhsa_kernarg_size 96
		.amdhsa_user_sgpr_count 2
		.amdhsa_user_sgpr_dispatch_ptr 0
		.amdhsa_user_sgpr_queue_ptr 0
		.amdhsa_user_sgpr_kernarg_segment_ptr 1
		.amdhsa_user_sgpr_dispatch_id 0
		.amdhsa_user_sgpr_private_segment_size 0
		.amdhsa_wavefront_size32 1
		.amdhsa_uses_dynamic_stack 0
		.amdhsa_enable_private_segment 0
		.amdhsa_system_sgpr_workgroup_id_x 1
		.amdhsa_system_sgpr_workgroup_id_y 1
		.amdhsa_system_sgpr_workgroup_id_z 0
		.amdhsa_system_sgpr_workgroup_info 0
		.amdhsa_system_vgpr_workitem_id 0
		.amdhsa_next_free_vgpr 29
		.amdhsa_next_free_sgpr 26
		.amdhsa_reserve_vcc 1
		.amdhsa_float_round_mode_32 0
		.amdhsa_float_round_mode_16_64 0
		.amdhsa_float_denorm_mode_32 3
		.amdhsa_float_denorm_mode_16_64 3
		.amdhsa_fp16_overflow 0
		.amdhsa_workgroup_processor_mode 1
		.amdhsa_memory_ordered 1
		.amdhsa_forward_progress 1
		.amdhsa_inst_pref_size 13
		.amdhsa_round_robin_scheduling 0
		.amdhsa_exception_fp_ieee_invalid_op 0
		.amdhsa_exception_fp_denorm_src 0
		.amdhsa_exception_fp_ieee_div_zero 0
		.amdhsa_exception_fp_ieee_overflow 0
		.amdhsa_exception_fp_ieee_underflow 0
		.amdhsa_exception_fp_ieee_inexact 0
		.amdhsa_exception_int_div_zero 0
	.end_amdhsa_kernel
	.section	.text._ZN9rocsolver6v33100L23larf_right_kernel_smallILi512EflPfEEvT1_S3_T2_lS3_lPKT0_lS4_lS3_l,"axG",@progbits,_ZN9rocsolver6v33100L23larf_right_kernel_smallILi512EflPfEEvT1_S3_T2_lS3_lPKT0_lS4_lS3_l,comdat
.Lfunc_end28:
	.size	_ZN9rocsolver6v33100L23larf_right_kernel_smallILi512EflPfEEvT1_S3_T2_lS3_lPKT0_lS4_lS3_l, .Lfunc_end28-_ZN9rocsolver6v33100L23larf_right_kernel_smallILi512EflPfEEvT1_S3_T2_lS3_lPKT0_lS4_lS3_l
                                        ; -- End function
	.set _ZN9rocsolver6v33100L23larf_right_kernel_smallILi512EflPfEEvT1_S3_T2_lS3_lPKT0_lS4_lS3_l.num_vgpr, 29
	.set _ZN9rocsolver6v33100L23larf_right_kernel_smallILi512EflPfEEvT1_S3_T2_lS3_lPKT0_lS4_lS3_l.num_agpr, 0
	.set _ZN9rocsolver6v33100L23larf_right_kernel_smallILi512EflPfEEvT1_S3_T2_lS3_lPKT0_lS4_lS3_l.numbered_sgpr, 26
	.set _ZN9rocsolver6v33100L23larf_right_kernel_smallILi512EflPfEEvT1_S3_T2_lS3_lPKT0_lS4_lS3_l.num_named_barrier, 0
	.set _ZN9rocsolver6v33100L23larf_right_kernel_smallILi512EflPfEEvT1_S3_T2_lS3_lPKT0_lS4_lS3_l.private_seg_size, 0
	.set _ZN9rocsolver6v33100L23larf_right_kernel_smallILi512EflPfEEvT1_S3_T2_lS3_lPKT0_lS4_lS3_l.uses_vcc, 1
	.set _ZN9rocsolver6v33100L23larf_right_kernel_smallILi512EflPfEEvT1_S3_T2_lS3_lPKT0_lS4_lS3_l.uses_flat_scratch, 0
	.set _ZN9rocsolver6v33100L23larf_right_kernel_smallILi512EflPfEEvT1_S3_T2_lS3_lPKT0_lS4_lS3_l.has_dyn_sized_stack, 0
	.set _ZN9rocsolver6v33100L23larf_right_kernel_smallILi512EflPfEEvT1_S3_T2_lS3_lPKT0_lS4_lS3_l.has_recursion, 0
	.set _ZN9rocsolver6v33100L23larf_right_kernel_smallILi512EflPfEEvT1_S3_T2_lS3_lPKT0_lS4_lS3_l.has_indirect_call, 0
	.section	.AMDGPU.csdata,"",@progbits
; Kernel info:
; codeLenInByte = 1548
; TotalNumSgprs: 28
; NumVgprs: 29
; ScratchSize: 0
; MemoryBound: 0
; FloatMode: 240
; IeeeMode: 1
; LDSByteSize: 8256 bytes/workgroup (compile time only)
; SGPRBlocks: 0
; VGPRBlocks: 3
; NumSGPRsForWavesPerEU: 28
; NumVGPRsForWavesPerEU: 29
; Occupancy: 16
; WaveLimiterHint : 0
; COMPUTE_PGM_RSRC2:SCRATCH_EN: 0
; COMPUTE_PGM_RSRC2:USER_SGPR: 2
; COMPUTE_PGM_RSRC2:TRAP_HANDLER: 0
; COMPUTE_PGM_RSRC2:TGID_X_EN: 1
; COMPUTE_PGM_RSRC2:TGID_Y_EN: 1
; COMPUTE_PGM_RSRC2:TGID_Z_EN: 0
; COMPUTE_PGM_RSRC2:TIDIG_COMP_CNT: 0
	.section	.text._ZN9rocsolver6v33100L23larf_right_kernel_smallILi1024EflPfEEvT1_S3_T2_lS3_lPKT0_lS4_lS3_l,"axG",@progbits,_ZN9rocsolver6v33100L23larf_right_kernel_smallILi1024EflPfEEvT1_S3_T2_lS3_lPKT0_lS4_lS3_l,comdat
	.globl	_ZN9rocsolver6v33100L23larf_right_kernel_smallILi1024EflPfEEvT1_S3_T2_lS3_lPKT0_lS4_lS3_l ; -- Begin function _ZN9rocsolver6v33100L23larf_right_kernel_smallILi1024EflPfEEvT1_S3_T2_lS3_lPKT0_lS4_lS3_l
	.p2align	8
	.type	_ZN9rocsolver6v33100L23larf_right_kernel_smallILi1024EflPfEEvT1_S3_T2_lS3_lPKT0_lS4_lS3_l,@function
_ZN9rocsolver6v33100L23larf_right_kernel_smallILi1024EflPfEEvT1_S3_T2_lS3_lPKT0_lS4_lS3_l: ; @_ZN9rocsolver6v33100L23larf_right_kernel_smallILi1024EflPfEEvT1_S3_T2_lS3_lPKT0_lS4_lS3_l
; %bb.0:
	s_load_b512 s[8:23], s[0:1], 0x0
	s_mov_b32 s4, ttmp9
	s_mov_b64 s[6:7], 0
	s_wait_kmcnt 0x0
	v_cmp_gt_i64_e64 s2, s[16:17], 0
	s_and_b32 vcc_lo, exec_lo, s2
	s_cbranch_vccnz .LBB29_2
; %bb.1:
	s_sub_nc_u64 s[2:3], 1, s[10:11]
	s_delay_alu instid0(SALU_CYCLE_1)
	s_mul_u64 s[6:7], s[16:17], s[2:3]
.LBB29_2:
	v_dual_mov_b32 v1, 0 :: v_dual_lshlrev_b32 v8, 2, v0
	s_mov_b32 s5, 0
	s_delay_alu instid0(VALU_DEP_1)
	v_cmp_gt_i64_e64 s2, s[10:11], v[0:1]
	s_and_saveexec_b32 s24, s2
	s_cbranch_execz .LBB29_5
; %bb.3:
	v_mad_co_u64_u32 v[2:3], null, s16, v0, 0
	s_lshl_b64 s[14:15], s[14:15], 2
	s_mul_u64 s[18:19], s[18:19], s[4:5]
	s_lshl_b64 s[6:7], s[6:7], 2
	s_add_nc_u64 s[12:13], s[12:13], s[14:15]
	s_lshl_b64 s[14:15], s[18:19], 2
	s_add_nc_u64 s[6:7], s[12:13], s[6:7]
	v_mad_co_u64_u32 v[3:4], null, s17, v0, v[3:4]
	s_add_nc_u64 s[6:7], s[6:7], s[14:15]
	v_dual_mov_b32 v5, v1 :: v_dual_lshlrev_b32 v6, 2, v0
	v_mov_b32_e32 v4, v0
	s_mov_b32 s12, s5
	v_lshlrev_b64_e32 v[2:3], 2, v[2:3]
	s_delay_alu instid0(VALU_DEP_1) | instskip(NEXT) | instid1(VALU_DEP_1)
	v_add_co_u32 v2, vcc_lo, s6, v2
	v_add_co_ci_u32_e64 v3, null, s7, v3, vcc_lo
	s_lshl_b64 s[6:7], s[16:17], 12
.LBB29_4:                               ; =>This Inner Loop Header: Depth=1
	global_load_b32 v7, v[2:3], off
	v_add_co_u32 v4, vcc_lo, 0x400, v4
	s_wait_alu 0xfffd
	v_add_co_ci_u32_e64 v5, null, 0, v5, vcc_lo
	s_wait_alu 0xfffe
	v_add_co_u32 v2, vcc_lo, v2, s6
	s_wait_alu 0xfffd
	v_add_co_ci_u32_e64 v3, null, s7, v3, vcc_lo
	v_cmp_le_i64_e64 s3, s[10:11], v[4:5]
	s_or_b32 s12, s3, s12
	s_wait_loadcnt 0x0
	ds_store_b32 v6, v7
	v_add_nc_u32_e32 v6, 0x1000, v6
	s_and_not1_b32 exec_lo, exec_lo, s12
	s_cbranch_execnz .LBB29_4
.LBB29_5:
	s_or_b32 exec_lo, exec_lo, s24
	s_mov_b32 s6, ttmp7
	s_mov_b32 s7, 0
	s_wait_dscnt 0x0
	s_wait_alu 0xfffe
	v_cmp_le_i64_e64 s3, s[8:9], s[6:7]
	s_barrier_signal -1
	s_barrier_wait -1
	global_inv scope:SCOPE_SE
	s_and_b32 vcc_lo, exec_lo, s3
	s_wait_alu 0xfffe
	s_cbranch_vccnz .LBB29_25
; %bb.6:
	s_load_b256 s[12:19], s[0:1], 0x40
	s_mul_u64 s[22:23], s[22:23], s[4:5]
	v_dual_mov_b32 v12, 0x200c :: v_dual_and_b32 v5, 31, v0
	s_lshl_b64 s[22:23], s[22:23], 2
	v_mbcnt_lo_u32_b32 v10, -1, 0
	v_cmp_gt_i32_e64 s0, s10, v0
	v_lshrrev_b32_e32 v9, 3, v0
	v_cmp_eq_u32_e64 s1, 0, v0
	v_dual_mov_b32 v11, 0x2004 :: v_dual_mov_b32 v28, 0
	v_mov_b32_e32 v13, 0x2014
	v_mov_b32_e32 v14, 0x201c
	;; [unrolled: 1-line block ×9, first 2 shown]
	s_wait_kmcnt 0x0
	v_mad_co_u64_u32 v[2:3], null, s16, v0, 0
	s_mul_u64 s[4:5], s[18:19], s[4:5]
	s_lshl_b64 s[14:15], s[14:15], 2
	s_lshl_b64 s[4:5], s[4:5], 2
	s_cmp_gt_i32 s10, 1
	v_mul_lo_u32 v27, v0, s16
	s_cselect_b32 s18, -1, 0
	v_mad_co_u64_u32 v[3:4], null, s17, v0, v[3:4]
	s_lshl_b64 s[24:25], s[6:7], 2
	v_mov_b32_e32 v22, 0x205c
	s_add_nc_u64 s[24:25], s[12:13], s[24:25]
	s_add_nc_u64 s[12:13], s[12:13], s[4:5]
	s_add_nc_u64 s[24:25], s[24:25], s[14:15]
	v_mov_b32_e32 v23, 0x2064
	v_lshlrev_b64_e32 v[2:3], 2, v[2:3]
	s_add_nc_u64 s[4:5], s[24:25], s[4:5]
	v_mov_b32_e32 v24, 0x206c
	v_mov_b32_e32 v25, 0x2074
	v_cmp_eq_u32_e64 s3, 0, v5
	v_lshl_or_b32 v26, v10, 2, 64
	v_add_co_u32 v2, vcc_lo, s4, v2
	s_wait_alu 0xfffd
	v_add_co_ci_u32_e64 v3, null, s5, v3, vcc_lo
	s_add_nc_u64 s[12:13], s[12:13], s[14:15]
	s_add_nc_u64 s[14:15], s[20:21], s[22:23]
	s_lshl_b32 s19, s16, 10
	s_lshl_b64 s[16:17], s[16:17], 12
	s_branch .LBB29_8
.LBB29_7:                               ;   in Loop: Header=BB29_8 Depth=1
	s_wait_alu 0xfffe
	s_or_b32 exec_lo, exec_lo, s5
	s_add_nc_u64 s[6:7], s[6:7], 64
	v_add_co_u32 v2, vcc_lo, 0x100, v2
	s_wait_alu 0xfffe
	v_cmp_ge_i64_e64 s4, s[6:7], s[8:9]
	s_wait_alu 0xfffd
	v_add_co_ci_u32_e64 v3, null, 0, v3, vcc_lo
	s_and_b32 vcc_lo, exec_lo, s4
	s_wait_alu 0xfffe
	s_cbranch_vccnz .LBB29_25
.LBB29_8:                               ; =>This Loop Header: Depth=1
                                        ;     Child Loop BB29_10 Depth 2
                                        ;     Child Loop BB29_24 Depth 2
	v_mov_b32_e32 v6, 0
	s_and_saveexec_b32 s20, s0
	s_cbranch_execz .LBB29_12
; %bb.9:                                ;   in Loop: Header=BB29_8 Depth=1
	v_dual_mov_b32 v6, 0 :: v_dual_mov_b32 v7, v8
	v_dual_mov_b32 v4, v27 :: v_dual_mov_b32 v29, v0
	s_lshl_b64 s[4:5], s[6:7], 2
	s_mov_b32 s21, 0
	s_wait_alu 0xfffe
	s_add_nc_u64 s[4:5], s[12:13], s[4:5]
.LBB29_10:                              ;   Parent Loop BB29_8 Depth=1
                                        ; =>  This Inner Loop Header: Depth=2
	v_ashrrev_i32_e32 v5, 31, v4
	v_add_nc_u32_e32 v29, 0x400, v29
	s_delay_alu instid0(VALU_DEP_2) | instskip(SKIP_2) | instid1(VALU_DEP_2)
	v_lshlrev_b64_e32 v[30:31], 2, v[4:5]
	v_add_nc_u32_e32 v4, s19, v4
	s_wait_alu 0xfffe
	v_add_co_u32 v30, vcc_lo, s4, v30
	s_wait_alu 0xfffd
	s_delay_alu instid0(VALU_DEP_3)
	v_add_co_ci_u32_e64 v31, null, s5, v31, vcc_lo
	v_cmp_le_i32_e32 vcc_lo, s10, v29
	global_load_b32 v5, v[30:31], off
	ds_load_b32 v30, v7
	v_add_nc_u32_e32 v7, 0x1000, v7
	s_or_b32 s21, vcc_lo, s21
	s_wait_loadcnt_dscnt 0x0
	v_fmac_f32_e32 v6, v30, v5
	s_and_not1_b32 exec_lo, exec_lo, s21
	s_cbranch_execnz .LBB29_10
; %bb.11:                               ;   in Loop: Header=BB29_8 Depth=1
	s_or_b32 exec_lo, exec_lo, s21
.LBB29_12:                              ;   in Loop: Header=BB29_8 Depth=1
	s_delay_alu instid0(SALU_CYCLE_1) | instskip(NEXT) | instid1(SALU_CYCLE_1)
	s_or_b32 exec_lo, exec_lo, s20
	s_and_b32 vcc_lo, exec_lo, s18
	s_wait_alu 0xfffe
	s_cbranch_vccz .LBB29_19
; %bb.13:                               ;   in Loop: Header=BB29_8 Depth=1
	v_cmp_ne_u32_e32 vcc_lo, 31, v10
	s_wait_alu 0xfffd
	v_add_co_ci_u32_e64 v4, null, 0, v10, vcc_lo
	v_cmp_gt_u32_e32 vcc_lo, 30, v10
	s_delay_alu instid0(VALU_DEP_2)
	v_lshlrev_b32_e32 v4, 2, v4
	s_wait_alu 0xfffd
	v_cndmask_b32_e64 v5, 0, 2, vcc_lo
	v_cmp_gt_u32_e32 vcc_lo, 28, v10
	ds_bpermute_b32 v4, v4, v6
	v_add_lshl_u32 v5, v5, v10, 2
	s_wait_alu 0xfffd
	v_cndmask_b32_e64 v7, 0, 4, vcc_lo
	v_cmp_gt_u32_e32 vcc_lo, 24, v10
	s_delay_alu instid0(VALU_DEP_2)
	v_add_lshl_u32 v7, v7, v10, 2
	s_wait_dscnt 0x0
	v_add_f32_e32 v4, v6, v4
	ds_bpermute_b32 v5, v5, v4
	s_wait_dscnt 0x0
	v_add_f32_e32 v4, v4, v5
	ds_bpermute_b32 v5, v7, v4
	s_wait_alu 0xfffd
	v_cndmask_b32_e64 v7, 0, 8, vcc_lo
	s_wait_dscnt 0x0
	v_add_f32_e32 v4, v4, v5
	s_delay_alu instid0(VALU_DEP_2)
	v_add_lshl_u32 v5, v7, v10, 2
	ds_bpermute_b32 v5, v5, v4
	s_wait_dscnt 0x0
	v_add_f32_e32 v4, v4, v5
	ds_bpermute_b32 v5, v26, v4
	s_wait_dscnt 0x0
	v_add_f32_e32 v4, v4, v5
	s_and_saveexec_b32 s4, s3
; %bb.14:                               ;   in Loop: Header=BB29_8 Depth=1
	ds_store_b32 v9, v4 offset:8192
; %bb.15:                               ;   in Loop: Header=BB29_8 Depth=1
	s_wait_alu 0xfffe
	s_or_b32 exec_lo, exec_lo, s4
	s_mov_b32 s5, 0
	s_mov_b32 s4, 0
	s_wait_loadcnt_dscnt 0x0
	s_barrier_signal -1
	s_barrier_wait -1
	global_inv scope:SCOPE_SE
                                        ; implicit-def: $vgpr5
	s_and_saveexec_b32 s20, s1
	s_delay_alu instid0(SALU_CYCLE_1)
	s_xor_b32 s20, exec_lo, s20
	s_cbranch_execz .LBB29_17
; %bb.16:                               ;   in Loop: Header=BB29_8 Depth=1
	ds_load_2addr_b32 v[29:30], v11 offset1:1
	ds_load_2addr_b32 v[31:32], v12 offset1:1
	;; [unrolled: 1-line block ×4, first 2 shown]
	s_mov_b32 s4, exec_lo
	s_wait_dscnt 0x3
	v_add_f32_e32 v4, v4, v29
	s_delay_alu instid0(VALU_DEP_1) | instskip(SKIP_3) | instid1(VALU_DEP_1)
	v_add_f32_e32 v4, v4, v30
	ds_load_2addr_b32 v[29:30], v16 offset1:1
	s_wait_dscnt 0x3
	v_add_f32_e32 v4, v4, v31
	v_add_f32_e32 v7, v4, v32
	ds_load_2addr_b32 v[4:5], v15 offset1:1
	s_wait_dscnt 0x3
	v_add_f32_e32 v7, v7, v33
	s_delay_alu instid0(VALU_DEP_1) | instskip(SKIP_4) | instid1(VALU_DEP_1)
	v_add_f32_e32 v7, v7, v34
	ds_load_2addr_b32 v[31:32], v17 offset1:1
	ds_load_2addr_b32 v[33:34], v18 offset1:1
	s_wait_dscnt 0x4
	v_add_f32_e32 v7, v7, v35
	v_add_f32_e32 v7, v7, v36
	s_wait_dscnt 0x2
	s_delay_alu instid0(VALU_DEP_1) | instskip(NEXT) | instid1(VALU_DEP_1)
	v_add_f32_e32 v4, v7, v4
	v_add_f32_e32 v4, v4, v5
	s_delay_alu instid0(VALU_DEP_1) | instskip(NEXT) | instid1(VALU_DEP_1)
	v_add_f32_e32 v4, v4, v29
	v_add_f32_e32 v7, v4, v30
	ds_load_2addr_b32 v[4:5], v19 offset1:1
	ds_load_2addr_b32 v[29:30], v20 offset1:1
	s_wait_dscnt 0x3
	v_add_f32_e32 v7, v7, v31
	s_delay_alu instid0(VALU_DEP_1) | instskip(SKIP_1) | instid1(VALU_DEP_1)
	v_add_f32_e32 v7, v7, v32
	s_wait_dscnt 0x2
	v_add_f32_e32 v7, v7, v33
	s_delay_alu instid0(VALU_DEP_1) | instskip(SKIP_4) | instid1(VALU_DEP_1)
	v_add_f32_e32 v7, v7, v34
	ds_load_2addr_b32 v[31:32], v21 offset1:1
	ds_load_2addr_b32 v[33:34], v22 offset1:1
	s_wait_dscnt 0x3
	v_add_f32_e32 v4, v7, v4
	v_add_f32_e32 v4, v4, v5
	s_wait_dscnt 0x2
	s_delay_alu instid0(VALU_DEP_1) | instskip(NEXT) | instid1(VALU_DEP_1)
	v_add_f32_e32 v4, v4, v29
	v_add_f32_e32 v4, v4, v30
	ds_load_2addr_b32 v[29:30], v24 offset1:1
	s_wait_dscnt 0x2
	v_add_f32_e32 v7, v4, v31
	ds_load_2addr_b32 v[4:5], v23 offset1:1
	v_add_f32_e32 v7, v7, v32
	s_wait_dscnt 0x2
	s_delay_alu instid0(VALU_DEP_1) | instskip(SKIP_4) | instid1(VALU_DEP_1)
	v_add_f32_e32 v7, v7, v33
	ds_load_2addr_b32 v[31:32], v25 offset1:1
	ds_load_b32 v33, v28 offset:8316
	v_add_f32_e32 v7, v7, v34
	s_wait_dscnt 0x2
	v_add_f32_e32 v4, v7, v4
	s_delay_alu instid0(VALU_DEP_1) | instskip(NEXT) | instid1(VALU_DEP_1)
	v_add_f32_e32 v4, v4, v5
	v_add_f32_e32 v4, v4, v29
	s_delay_alu instid0(VALU_DEP_1) | instskip(SKIP_1) | instid1(VALU_DEP_1)
	v_add_f32_e32 v4, v4, v30
	s_wait_dscnt 0x1
	v_add_f32_e32 v4, v4, v31
	s_delay_alu instid0(VALU_DEP_1) | instskip(SKIP_1) | instid1(VALU_DEP_1)
	v_add_f32_e32 v4, v4, v32
	s_wait_dscnt 0x0
	v_add_f32_e32 v5, v4, v33
.LBB29_17:                              ;   in Loop: Header=BB29_8 Depth=1
	s_or_b32 exec_lo, exec_lo, s20
	s_wait_alu 0xfffe
	s_and_b32 vcc_lo, exec_lo, s5
	s_wait_alu 0xfffe
	s_cbranch_vccnz .LBB29_20
.LBB29_18:                              ;   in Loop: Header=BB29_8 Depth=1
	v_mov_b32_e32 v6, v5
	s_wait_alu 0xfffe
	s_and_saveexec_b32 s5, s4
	s_cbranch_execnz .LBB29_21
	s_branch .LBB29_22
.LBB29_19:                              ;   in Loop: Header=BB29_8 Depth=1
	s_mov_b32 s4, 0
                                        ; implicit-def: $vgpr5
	s_cbranch_execz .LBB29_18
.LBB29_20:                              ;   in Loop: Header=BB29_8 Depth=1
	s_wait_alu 0xfffe
	s_and_not1_b32 s4, s4, exec_lo
	s_and_b32 s5, s1, exec_lo
	s_wait_alu 0xfffe
	s_or_b32 s4, s4, s5
	s_wait_alu 0xfffe
	s_and_saveexec_b32 s5, s4
.LBB29_21:                              ;   in Loop: Header=BB29_8 Depth=1
	ds_store_b32 v28, v6 offset:8192
.LBB29_22:                              ;   in Loop: Header=BB29_8 Depth=1
	s_wait_alu 0xfffe
	s_or_b32 exec_lo, exec_lo, s5
	s_wait_loadcnt_dscnt 0x0
	s_barrier_signal -1
	s_barrier_wait -1
	global_inv scope:SCOPE_SE
	s_and_saveexec_b32 s5, s2
	s_cbranch_execz .LBB29_7
; %bb.23:                               ;   in Loop: Header=BB29_8 Depth=1
	global_load_b32 v4, v28, s[14:15]
	ds_load_b32 v6, v28 offset:8192
	v_mov_b32_e32 v29, v8
	s_mov_b32 s20, 0
	s_wait_loadcnt 0x0
	v_xor_b32_e32 v7, 0x80000000, v4
	v_dual_mov_b32 v5, v3 :: v_dual_mov_b32 v4, v2
	s_wait_dscnt 0x0
	s_delay_alu instid0(VALU_DEP_2)
	v_dual_mul_f32 v30, v6, v7 :: v_dual_mov_b32 v7, v1
	v_mov_b32_e32 v6, v0
.LBB29_24:                              ;   Parent Loop BB29_8 Depth=1
                                        ; =>  This Inner Loop Header: Depth=2
	global_load_b32 v31, v[4:5], off
	ds_load_b32 v32, v29
	v_add_co_u32 v6, vcc_lo, 0x400, v6
	s_wait_alu 0xfffd
	v_add_co_ci_u32_e64 v7, null, 0, v7, vcc_lo
	v_add_nc_u32_e32 v29, 0x1000, v29
	s_delay_alu instid0(VALU_DEP_2)
	v_cmp_le_i64_e32 vcc_lo, s[10:11], v[6:7]
	s_or_b32 s20, vcc_lo, s20
	s_wait_loadcnt_dscnt 0x0
	v_fmac_f32_e32 v31, v30, v32
	global_store_b32 v[4:5], v31, off
	v_add_co_u32 v4, s4, v4, s16
	s_wait_alu 0xf1ff
	v_add_co_ci_u32_e64 v5, null, s17, v5, s4
	s_and_not1_b32 exec_lo, exec_lo, s20
	s_cbranch_execnz .LBB29_24
	s_branch .LBB29_7
.LBB29_25:
	s_endpgm
	.section	.rodata,"a",@progbits
	.p2align	6, 0x0
	.amdhsa_kernel _ZN9rocsolver6v33100L23larf_right_kernel_smallILi1024EflPfEEvT1_S3_T2_lS3_lPKT0_lS4_lS3_l
		.amdhsa_group_segment_fixed_size 8320
		.amdhsa_private_segment_fixed_size 0
		.amdhsa_kernarg_size 96
		.amdhsa_user_sgpr_count 2
		.amdhsa_user_sgpr_dispatch_ptr 0
		.amdhsa_user_sgpr_queue_ptr 0
		.amdhsa_user_sgpr_kernarg_segment_ptr 1
		.amdhsa_user_sgpr_dispatch_id 0
		.amdhsa_user_sgpr_private_segment_size 0
		.amdhsa_wavefront_size32 1
		.amdhsa_uses_dynamic_stack 0
		.amdhsa_enable_private_segment 0
		.amdhsa_system_sgpr_workgroup_id_x 1
		.amdhsa_system_sgpr_workgroup_id_y 1
		.amdhsa_system_sgpr_workgroup_id_z 0
		.amdhsa_system_sgpr_workgroup_info 0
		.amdhsa_system_vgpr_workitem_id 0
		.amdhsa_next_free_vgpr 37
		.amdhsa_next_free_sgpr 26
		.amdhsa_reserve_vcc 1
		.amdhsa_float_round_mode_32 0
		.amdhsa_float_round_mode_16_64 0
		.amdhsa_float_denorm_mode_32 3
		.amdhsa_float_denorm_mode_16_64 3
		.amdhsa_fp16_overflow 0
		.amdhsa_workgroup_processor_mode 1
		.amdhsa_memory_ordered 1
		.amdhsa_forward_progress 1
		.amdhsa_inst_pref_size 14
		.amdhsa_round_robin_scheduling 0
		.amdhsa_exception_fp_ieee_invalid_op 0
		.amdhsa_exception_fp_denorm_src 0
		.amdhsa_exception_fp_ieee_div_zero 0
		.amdhsa_exception_fp_ieee_overflow 0
		.amdhsa_exception_fp_ieee_underflow 0
		.amdhsa_exception_fp_ieee_inexact 0
		.amdhsa_exception_int_div_zero 0
	.end_amdhsa_kernel
	.section	.text._ZN9rocsolver6v33100L23larf_right_kernel_smallILi1024EflPfEEvT1_S3_T2_lS3_lPKT0_lS4_lS3_l,"axG",@progbits,_ZN9rocsolver6v33100L23larf_right_kernel_smallILi1024EflPfEEvT1_S3_T2_lS3_lPKT0_lS4_lS3_l,comdat
.Lfunc_end29:
	.size	_ZN9rocsolver6v33100L23larf_right_kernel_smallILi1024EflPfEEvT1_S3_T2_lS3_lPKT0_lS4_lS3_l, .Lfunc_end29-_ZN9rocsolver6v33100L23larf_right_kernel_smallILi1024EflPfEEvT1_S3_T2_lS3_lPKT0_lS4_lS3_l
                                        ; -- End function
	.set _ZN9rocsolver6v33100L23larf_right_kernel_smallILi1024EflPfEEvT1_S3_T2_lS3_lPKT0_lS4_lS3_l.num_vgpr, 37
	.set _ZN9rocsolver6v33100L23larf_right_kernel_smallILi1024EflPfEEvT1_S3_T2_lS3_lPKT0_lS4_lS3_l.num_agpr, 0
	.set _ZN9rocsolver6v33100L23larf_right_kernel_smallILi1024EflPfEEvT1_S3_T2_lS3_lPKT0_lS4_lS3_l.numbered_sgpr, 26
	.set _ZN9rocsolver6v33100L23larf_right_kernel_smallILi1024EflPfEEvT1_S3_T2_lS3_lPKT0_lS4_lS3_l.num_named_barrier, 0
	.set _ZN9rocsolver6v33100L23larf_right_kernel_smallILi1024EflPfEEvT1_S3_T2_lS3_lPKT0_lS4_lS3_l.private_seg_size, 0
	.set _ZN9rocsolver6v33100L23larf_right_kernel_smallILi1024EflPfEEvT1_S3_T2_lS3_lPKT0_lS4_lS3_l.uses_vcc, 1
	.set _ZN9rocsolver6v33100L23larf_right_kernel_smallILi1024EflPfEEvT1_S3_T2_lS3_lPKT0_lS4_lS3_l.uses_flat_scratch, 0
	.set _ZN9rocsolver6v33100L23larf_right_kernel_smallILi1024EflPfEEvT1_S3_T2_lS3_lPKT0_lS4_lS3_l.has_dyn_sized_stack, 0
	.set _ZN9rocsolver6v33100L23larf_right_kernel_smallILi1024EflPfEEvT1_S3_T2_lS3_lPKT0_lS4_lS3_l.has_recursion, 0
	.set _ZN9rocsolver6v33100L23larf_right_kernel_smallILi1024EflPfEEvT1_S3_T2_lS3_lPKT0_lS4_lS3_l.has_indirect_call, 0
	.section	.AMDGPU.csdata,"",@progbits
; Kernel info:
; codeLenInByte = 1780
; TotalNumSgprs: 28
; NumVgprs: 37
; ScratchSize: 0
; MemoryBound: 0
; FloatMode: 240
; IeeeMode: 1
; LDSByteSize: 8320 bytes/workgroup (compile time only)
; SGPRBlocks: 0
; VGPRBlocks: 4
; NumSGPRsForWavesPerEU: 28
; NumVGPRsForWavesPerEU: 37
; Occupancy: 16
; WaveLimiterHint : 0
; COMPUTE_PGM_RSRC2:SCRATCH_EN: 0
; COMPUTE_PGM_RSRC2:USER_SGPR: 2
; COMPUTE_PGM_RSRC2:TRAP_HANDLER: 0
; COMPUTE_PGM_RSRC2:TGID_X_EN: 1
; COMPUTE_PGM_RSRC2:TGID_Y_EN: 1
; COMPUTE_PGM_RSRC2:TGID_Z_EN: 0
; COMPUTE_PGM_RSRC2:TIDIG_COMP_CNT: 0
	.section	.text._ZN9rocsolver6v33100L22larf_left_kernel_smallILi64EflPKPfEEvT1_S5_T2_lS5_lPKT0_lS6_lS5_l,"axG",@progbits,_ZN9rocsolver6v33100L22larf_left_kernel_smallILi64EflPKPfEEvT1_S5_T2_lS5_lPKT0_lS6_lS5_l,comdat
	.globl	_ZN9rocsolver6v33100L22larf_left_kernel_smallILi64EflPKPfEEvT1_S5_T2_lS5_lPKT0_lS6_lS5_l ; -- Begin function _ZN9rocsolver6v33100L22larf_left_kernel_smallILi64EflPKPfEEvT1_S5_T2_lS5_lPKT0_lS6_lS5_l
	.p2align	8
	.type	_ZN9rocsolver6v33100L22larf_left_kernel_smallILi64EflPKPfEEvT1_S5_T2_lS5_lPKT0_lS6_lS5_l,@function
_ZN9rocsolver6v33100L22larf_left_kernel_smallILi64EflPKPfEEvT1_S5_T2_lS5_lPKT0_lS6_lS5_l: ; @_ZN9rocsolver6v33100L22larf_left_kernel_smallILi64EflPKPfEEvT1_S5_T2_lS5_lPKT0_lS6_lS5_l
; %bb.0:
	s_clause 0x3
	s_load_b64 s[6:7], s[0:1], 0x20
	s_load_b256 s[16:23], s[0:1], 0x30
	s_load_b256 s[8:15], s[0:1], 0x0
	s_load_b64 s[4:5], s[0:1], 0x50
	s_mov_b32 s2, ttmp9
	s_mov_b32 s3, 0
	s_delay_alu instid0(SALU_CYCLE_1)
	s_lshl_b64 s[26:27], s[2:3], 3
	s_wait_kmcnt 0x0
	v_cmp_gt_i64_e64 s24, s[6:7], 0
	s_add_nc_u64 s[0:1], s[20:21], s[26:27]
	s_and_b32 vcc_lo, exec_lo, s24
	s_mov_b64 s[24:25], 0
	s_cbranch_vccnz .LBB30_2
; %bb.1:
	s_sub_nc_u64 s[20:21], 1, s[8:9]
	s_delay_alu instid0(SALU_CYCLE_1)
	s_mul_u64 s[24:25], s[6:7], s[20:21]
.LBB30_2:
	s_load_b64 s[20:21], s[0:1], 0x0
	v_dual_mov_b32 v1, 0 :: v_dual_lshlrev_b32 v8, 2, v0
	s_delay_alu instid0(VALU_DEP_1)
	v_cmp_gt_i64_e64 s0, s[8:9], v[0:1]
	s_and_saveexec_b32 s28, s0
	s_cbranch_execz .LBB30_5
; %bb.3:
	s_add_nc_u64 s[12:13], s[12:13], s[26:27]
	v_mad_co_u64_u32 v[2:3], null, s6, v0, 0
	s_load_b64 s[12:13], s[12:13], 0x0
	s_lshl_b64 s[14:15], s[14:15], 2
	s_lshl_b64 s[24:25], s[24:25], 2
	v_lshlrev_b32_e32 v6, 2, v0
	v_mad_co_u64_u32 v[3:4], null, s7, v0, v[3:4]
	v_dual_mov_b32 v5, v1 :: v_dual_mov_b32 v4, v0
	s_lshl_b64 s[6:7], s[6:7], 8
	s_delay_alu instid0(VALU_DEP_2) | instskip(SKIP_2) | instid1(SALU_CYCLE_1)
	v_lshlrev_b64_e32 v[2:3], 2, v[2:3]
	s_wait_kmcnt 0x0
	s_add_nc_u64 s[12:13], s[12:13], s[14:15]
	s_add_nc_u64 s[12:13], s[12:13], s[24:25]
	s_delay_alu instid0(VALU_DEP_1) | instid1(SALU_CYCLE_1)
	v_add_co_u32 v2, vcc_lo, s12, v2
	s_delay_alu instid0(VALU_DEP_1)
	v_add_co_ci_u32_e64 v3, null, s13, v3, vcc_lo
	s_mov_b32 s12, 0
.LBB30_4:                               ; =>This Inner Loop Header: Depth=1
	flat_load_b32 v7, v[2:3]
	v_add_co_u32 v4, vcc_lo, v4, 64
	s_wait_alu 0xfffd
	v_add_co_ci_u32_e64 v5, null, 0, v5, vcc_lo
	s_wait_alu 0xfffe
	v_add_co_u32 v2, vcc_lo, v2, s6
	s_wait_alu 0xfffd
	v_add_co_ci_u32_e64 v3, null, s7, v3, vcc_lo
	v_cmp_le_i64_e64 s1, s[8:9], v[4:5]
	s_or_b32 s12, s1, s12
	s_wait_loadcnt_dscnt 0x0
	ds_store_b32 v6, v7
	v_add_nc_u32_e32 v6, 0x100, v6
	s_wait_alu 0xfffe
	s_and_not1_b32 exec_lo, exec_lo, s12
	s_cbranch_execnz .LBB30_4
.LBB30_5:
	s_or_b32 exec_lo, exec_lo, s28
	s_mov_b32 s6, ttmp7
	s_mov_b32 s7, 0
	s_wait_dscnt 0x0
	s_wait_alu 0xfffe
	v_cmp_le_i64_e64 s1, s[10:11], s[6:7]
	s_barrier_signal -1
	s_barrier_wait -1
	global_inv scope:SCOPE_SE
	s_and_b32 vcc_lo, exec_lo, s1
	s_wait_alu 0xfffe
	s_cbranch_vccnz .LBB30_25
; %bb.6:
	s_mul_u64 s[2:3], s[18:19], s[2:3]
	v_and_b32_e32 v2, 31, v0
	s_lshl_b64 s[12:13], s[2:3], 2
	s_cmp_gt_i32 s8, 1
	s_mul_u64 s[14:15], s[4:5], s[6:7]
	s_cselect_b32 s18, -1, 0
	s_lshl_b64 s[14:15], s[14:15], 2
	s_lshl_b64 s[22:23], s[22:23], 2
	v_cmp_eq_u32_e64 s2, 0, v2
	v_lshlrev_b32_e32 v2, 2, v0
	s_add_nc_u64 s[14:15], s[14:15], s[22:23]
	v_mbcnt_lo_u32_b32 v11, -1, 0
	s_wait_kmcnt 0x0
	s_add_nc_u64 s[14:15], s[20:21], s[14:15]
	v_cmp_gt_i32_e64 s1, s8, v0
	v_add_co_u32 v2, s14, s14, v2
	v_lshrrev_b32_e32 v9, 3, v0
	v_cmp_eq_u32_e64 s3, 0, v0
	v_mov_b32_e32 v10, 0
	s_wait_alu 0xf1ff
	v_add_co_ci_u32_e64 v3, null, s15, 0, s14
	v_lshl_or_b32 v12, v11, 2, 64
	s_wait_alu 0xfffe
	s_add_nc_u64 s[12:13], s[16:17], s[12:13]
	s_lshl_b64 s[14:15], s[4:5], 8
	s_branch .LBB30_8
.LBB30_7:                               ;   in Loop: Header=BB30_8 Depth=1
	s_wait_alu 0xfffe
	s_or_b32 exec_lo, exec_lo, s5
	s_add_nc_u64 s[6:7], s[6:7], 64
	v_add_co_u32 v2, vcc_lo, v2, s14
	s_wait_alu 0xfffe
	v_cmp_ge_i64_e64 s4, s[6:7], s[10:11]
	s_wait_alu 0xfffd
	v_add_co_ci_u32_e64 v3, null, s15, v3, vcc_lo
	s_and_b32 vcc_lo, exec_lo, s4
	s_wait_alu 0xfffe
	s_cbranch_vccnz .LBB30_25
.LBB30_8:                               ; =>This Loop Header: Depth=1
                                        ;     Child Loop BB30_10 Depth 2
                                        ;     Child Loop BB30_24 Depth 2
	v_mov_b32_e32 v6, 0
	s_and_saveexec_b32 s5, s1
	s_cbranch_execz .LBB30_12
; %bb.9:                                ;   in Loop: Header=BB30_8 Depth=1
	v_dual_mov_b32 v6, 0 :: v_dual_mov_b32 v5, v3
	v_dual_mov_b32 v4, v2 :: v_dual_mov_b32 v7, v8
	v_mov_b32_e32 v13, v0
	s_mov_b32 s16, 0
.LBB30_10:                              ;   Parent Loop BB30_8 Depth=1
                                        ; =>  This Inner Loop Header: Depth=2
	flat_load_b32 v14, v[4:5]
	ds_load_b32 v15, v7
	v_add_nc_u32_e32 v13, 64, v13
	v_add_co_u32 v4, vcc_lo, 0x100, v4
	v_add_nc_u32_e32 v7, 0x100, v7
	s_wait_alu 0xfffd
	v_add_co_ci_u32_e64 v5, null, 0, v5, vcc_lo
	s_wait_loadcnt_dscnt 0x0
	v_fmac_f32_e32 v6, v15, v14
	v_cmp_le_i32_e64 s4, s8, v13
	s_or_b32 s16, s4, s16
	s_delay_alu instid0(SALU_CYCLE_1)
	s_and_not1_b32 exec_lo, exec_lo, s16
	s_cbranch_execnz .LBB30_10
; %bb.11:                               ;   in Loop: Header=BB30_8 Depth=1
	s_or_b32 exec_lo, exec_lo, s16
.LBB30_12:                              ;   in Loop: Header=BB30_8 Depth=1
	s_wait_alu 0xfffe
	s_or_b32 exec_lo, exec_lo, s5
	s_delay_alu instid0(SALU_CYCLE_1)
	s_and_b32 vcc_lo, exec_lo, s18
	s_wait_alu 0xfffe
	s_cbranch_vccz .LBB30_19
; %bb.13:                               ;   in Loop: Header=BB30_8 Depth=1
	v_cmp_ne_u32_e32 vcc_lo, 31, v11
	s_wait_alu 0xfffd
	v_add_co_ci_u32_e64 v4, null, 0, v11, vcc_lo
	v_cmp_gt_u32_e32 vcc_lo, 30, v11
	s_delay_alu instid0(VALU_DEP_2)
	v_lshlrev_b32_e32 v4, 2, v4
	s_wait_alu 0xfffd
	v_cndmask_b32_e64 v5, 0, 2, vcc_lo
	v_cmp_gt_u32_e32 vcc_lo, 28, v11
	ds_bpermute_b32 v4, v4, v6
	v_add_lshl_u32 v5, v5, v11, 2
	s_wait_alu 0xfffd
	v_cndmask_b32_e64 v7, 0, 4, vcc_lo
	v_cmp_gt_u32_e32 vcc_lo, 24, v11
	s_delay_alu instid0(VALU_DEP_2)
	v_add_lshl_u32 v7, v7, v11, 2
	s_wait_dscnt 0x0
	v_add_f32_e32 v4, v6, v4
	ds_bpermute_b32 v5, v5, v4
	s_wait_dscnt 0x0
	v_add_f32_e32 v4, v4, v5
	ds_bpermute_b32 v5, v7, v4
	s_wait_alu 0xfffd
	v_cndmask_b32_e64 v7, 0, 8, vcc_lo
	s_wait_dscnt 0x0
	v_add_f32_e32 v4, v4, v5
	s_delay_alu instid0(VALU_DEP_2)
	v_add_lshl_u32 v5, v7, v11, 2
	ds_bpermute_b32 v5, v5, v4
	s_wait_dscnt 0x0
	v_add_f32_e32 v4, v4, v5
	ds_bpermute_b32 v5, v12, v4
	s_wait_dscnt 0x0
	v_add_f32_e32 v5, v4, v5
	s_and_saveexec_b32 s4, s2
; %bb.14:                               ;   in Loop: Header=BB30_8 Depth=1
	ds_store_b32 v9, v5 offset:8192
; %bb.15:                               ;   in Loop: Header=BB30_8 Depth=1
	s_wait_alu 0xfffe
	s_or_b32 exec_lo, exec_lo, s4
	s_mov_b32 s5, 0
	s_mov_b32 s4, 0
	s_wait_loadcnt_dscnt 0x0
	s_barrier_signal -1
	s_barrier_wait -1
	global_inv scope:SCOPE_SE
                                        ; implicit-def: $vgpr4
	s_and_saveexec_b32 s16, s3
	s_delay_alu instid0(SALU_CYCLE_1)
	s_xor_b32 s16, exec_lo, s16
	s_cbranch_execz .LBB30_17
; %bb.16:                               ;   in Loop: Header=BB30_8 Depth=1
	ds_load_b32 v4, v10 offset:8196
	s_mov_b32 s4, exec_lo
	s_wait_dscnt 0x0
	v_add_f32_e32 v4, v5, v4
.LBB30_17:                              ;   in Loop: Header=BB30_8 Depth=1
	s_or_b32 exec_lo, exec_lo, s16
	s_wait_alu 0xfffe
	s_and_b32 vcc_lo, exec_lo, s5
	s_wait_alu 0xfffe
	s_cbranch_vccnz .LBB30_20
.LBB30_18:                              ;   in Loop: Header=BB30_8 Depth=1
	v_mov_b32_e32 v6, v4
	s_wait_alu 0xfffe
	s_and_saveexec_b32 s5, s4
	s_cbranch_execnz .LBB30_21
	s_branch .LBB30_22
.LBB30_19:                              ;   in Loop: Header=BB30_8 Depth=1
	s_mov_b32 s4, 0
                                        ; implicit-def: $vgpr4
	s_cbranch_execz .LBB30_18
.LBB30_20:                              ;   in Loop: Header=BB30_8 Depth=1
	s_wait_alu 0xfffe
	s_and_not1_b32 s4, s4, exec_lo
	s_and_b32 s5, s3, exec_lo
	s_wait_alu 0xfffe
	s_or_b32 s4, s4, s5
	s_wait_alu 0xfffe
	s_and_saveexec_b32 s5, s4
.LBB30_21:                              ;   in Loop: Header=BB30_8 Depth=1
	ds_store_b32 v10, v6 offset:8192
.LBB30_22:                              ;   in Loop: Header=BB30_8 Depth=1
	s_wait_alu 0xfffe
	s_or_b32 exec_lo, exec_lo, s5
	s_wait_loadcnt_dscnt 0x0
	s_barrier_signal -1
	s_barrier_wait -1
	global_inv scope:SCOPE_SE
	s_and_saveexec_b32 s5, s0
	s_cbranch_execz .LBB30_7
; %bb.23:                               ;   in Loop: Header=BB30_8 Depth=1
	global_load_b32 v4, v10, s[12:13]
	ds_load_b32 v6, v10 offset:8192
	s_mov_b32 s16, 0
	s_wait_loadcnt 0x0
	v_xor_b32_e32 v7, 0x80000000, v4
	v_dual_mov_b32 v5, v3 :: v_dual_mov_b32 v4, v2
	s_wait_dscnt 0x0
	s_delay_alu instid0(VALU_DEP_2)
	v_dual_mov_b32 v13, v8 :: v_dual_mul_f32 v14, v6, v7
	v_dual_mov_b32 v7, v1 :: v_dual_mov_b32 v6, v0
.LBB30_24:                              ;   Parent Loop BB30_8 Depth=1
                                        ; =>  This Inner Loop Header: Depth=2
	flat_load_b32 v15, v[4:5]
	ds_load_b32 v16, v13
	v_add_co_u32 v6, vcc_lo, v6, 64
	s_wait_alu 0xfffd
	v_add_co_ci_u32_e64 v7, null, 0, v7, vcc_lo
	v_add_nc_u32_e32 v13, 0x100, v13
	s_delay_alu instid0(VALU_DEP_2)
	v_cmp_le_i64_e32 vcc_lo, s[8:9], v[6:7]
	s_or_b32 s16, vcc_lo, s16
	s_wait_loadcnt_dscnt 0x0
	v_fmac_f32_e32 v15, v14, v16
	flat_store_b32 v[4:5], v15
	v_add_co_u32 v4, s4, 0x100, v4
	s_wait_alu 0xf1ff
	v_add_co_ci_u32_e64 v5, null, 0, v5, s4
	s_and_not1_b32 exec_lo, exec_lo, s16
	s_cbranch_execnz .LBB30_24
	s_branch .LBB30_7
.LBB30_25:
	s_endpgm
	.section	.rodata,"a",@progbits
	.p2align	6, 0x0
	.amdhsa_kernel _ZN9rocsolver6v33100L22larf_left_kernel_smallILi64EflPKPfEEvT1_S5_T2_lS5_lPKT0_lS6_lS5_l
		.amdhsa_group_segment_fixed_size 8448
		.amdhsa_private_segment_fixed_size 0
		.amdhsa_kernarg_size 96
		.amdhsa_user_sgpr_count 2
		.amdhsa_user_sgpr_dispatch_ptr 0
		.amdhsa_user_sgpr_queue_ptr 0
		.amdhsa_user_sgpr_kernarg_segment_ptr 1
		.amdhsa_user_sgpr_dispatch_id 0
		.amdhsa_user_sgpr_private_segment_size 0
		.amdhsa_wavefront_size32 1
		.amdhsa_uses_dynamic_stack 0
		.amdhsa_enable_private_segment 0
		.amdhsa_system_sgpr_workgroup_id_x 1
		.amdhsa_system_sgpr_workgroup_id_y 1
		.amdhsa_system_sgpr_workgroup_id_z 0
		.amdhsa_system_sgpr_workgroup_info 0
		.amdhsa_system_vgpr_workitem_id 0
		.amdhsa_next_free_vgpr 169
		.amdhsa_next_free_sgpr 29
		.amdhsa_reserve_vcc 1
		.amdhsa_float_round_mode_32 0
		.amdhsa_float_round_mode_16_64 0
		.amdhsa_float_denorm_mode_32 3
		.amdhsa_float_denorm_mode_16_64 3
		.amdhsa_fp16_overflow 0
		.amdhsa_workgroup_processor_mode 1
		.amdhsa_memory_ordered 1
		.amdhsa_forward_progress 1
		.amdhsa_inst_pref_size 11
		.amdhsa_round_robin_scheduling 0
		.amdhsa_exception_fp_ieee_invalid_op 0
		.amdhsa_exception_fp_denorm_src 0
		.amdhsa_exception_fp_ieee_div_zero 0
		.amdhsa_exception_fp_ieee_overflow 0
		.amdhsa_exception_fp_ieee_underflow 0
		.amdhsa_exception_fp_ieee_inexact 0
		.amdhsa_exception_int_div_zero 0
	.end_amdhsa_kernel
	.section	.text._ZN9rocsolver6v33100L22larf_left_kernel_smallILi64EflPKPfEEvT1_S5_T2_lS5_lPKT0_lS6_lS5_l,"axG",@progbits,_ZN9rocsolver6v33100L22larf_left_kernel_smallILi64EflPKPfEEvT1_S5_T2_lS5_lPKT0_lS6_lS5_l,comdat
.Lfunc_end30:
	.size	_ZN9rocsolver6v33100L22larf_left_kernel_smallILi64EflPKPfEEvT1_S5_T2_lS5_lPKT0_lS6_lS5_l, .Lfunc_end30-_ZN9rocsolver6v33100L22larf_left_kernel_smallILi64EflPKPfEEvT1_S5_T2_lS5_lPKT0_lS6_lS5_l
                                        ; -- End function
	.set _ZN9rocsolver6v33100L22larf_left_kernel_smallILi64EflPKPfEEvT1_S5_T2_lS5_lPKT0_lS6_lS5_l.num_vgpr, 17
	.set _ZN9rocsolver6v33100L22larf_left_kernel_smallILi64EflPKPfEEvT1_S5_T2_lS5_lPKT0_lS6_lS5_l.num_agpr, 0
	.set _ZN9rocsolver6v33100L22larf_left_kernel_smallILi64EflPKPfEEvT1_S5_T2_lS5_lPKT0_lS6_lS5_l.numbered_sgpr, 29
	.set _ZN9rocsolver6v33100L22larf_left_kernel_smallILi64EflPKPfEEvT1_S5_T2_lS5_lPKT0_lS6_lS5_l.num_named_barrier, 0
	.set _ZN9rocsolver6v33100L22larf_left_kernel_smallILi64EflPKPfEEvT1_S5_T2_lS5_lPKT0_lS6_lS5_l.private_seg_size, 0
	.set _ZN9rocsolver6v33100L22larf_left_kernel_smallILi64EflPKPfEEvT1_S5_T2_lS5_lPKT0_lS6_lS5_l.uses_vcc, 1
	.set _ZN9rocsolver6v33100L22larf_left_kernel_smallILi64EflPKPfEEvT1_S5_T2_lS5_lPKT0_lS6_lS5_l.uses_flat_scratch, 0
	.set _ZN9rocsolver6v33100L22larf_left_kernel_smallILi64EflPKPfEEvT1_S5_T2_lS5_lPKT0_lS6_lS5_l.has_dyn_sized_stack, 0
	.set _ZN9rocsolver6v33100L22larf_left_kernel_smallILi64EflPKPfEEvT1_S5_T2_lS5_lPKT0_lS6_lS5_l.has_recursion, 0
	.set _ZN9rocsolver6v33100L22larf_left_kernel_smallILi64EflPKPfEEvT1_S5_T2_lS5_lPKT0_lS6_lS5_l.has_indirect_call, 0
	.section	.AMDGPU.csdata,"",@progbits
; Kernel info:
; codeLenInByte = 1312
; TotalNumSgprs: 31
; NumVgprs: 17
; ScratchSize: 0
; MemoryBound: 0
; FloatMode: 240
; IeeeMode: 1
; LDSByteSize: 8448 bytes/workgroup (compile time only)
; SGPRBlocks: 0
; VGPRBlocks: 21
; NumSGPRsForWavesPerEU: 31
; NumVGPRsForWavesPerEU: 169
; Occupancy: 8
; WaveLimiterHint : 0
; COMPUTE_PGM_RSRC2:SCRATCH_EN: 0
; COMPUTE_PGM_RSRC2:USER_SGPR: 2
; COMPUTE_PGM_RSRC2:TRAP_HANDLER: 0
; COMPUTE_PGM_RSRC2:TGID_X_EN: 1
; COMPUTE_PGM_RSRC2:TGID_Y_EN: 1
; COMPUTE_PGM_RSRC2:TGID_Z_EN: 0
; COMPUTE_PGM_RSRC2:TIDIG_COMP_CNT: 0
	.section	.text._ZN9rocsolver6v33100L22larf_left_kernel_smallILi128EflPKPfEEvT1_S5_T2_lS5_lPKT0_lS6_lS5_l,"axG",@progbits,_ZN9rocsolver6v33100L22larf_left_kernel_smallILi128EflPKPfEEvT1_S5_T2_lS5_lPKT0_lS6_lS5_l,comdat
	.globl	_ZN9rocsolver6v33100L22larf_left_kernel_smallILi128EflPKPfEEvT1_S5_T2_lS5_lPKT0_lS6_lS5_l ; -- Begin function _ZN9rocsolver6v33100L22larf_left_kernel_smallILi128EflPKPfEEvT1_S5_T2_lS5_lPKT0_lS6_lS5_l
	.p2align	8
	.type	_ZN9rocsolver6v33100L22larf_left_kernel_smallILi128EflPKPfEEvT1_S5_T2_lS5_lPKT0_lS6_lS5_l,@function
_ZN9rocsolver6v33100L22larf_left_kernel_smallILi128EflPKPfEEvT1_S5_T2_lS5_lPKT0_lS6_lS5_l: ; @_ZN9rocsolver6v33100L22larf_left_kernel_smallILi128EflPKPfEEvT1_S5_T2_lS5_lPKT0_lS6_lS5_l
; %bb.0:
	s_clause 0x3
	s_load_b64 s[6:7], s[0:1], 0x20
	s_load_b256 s[16:23], s[0:1], 0x30
	s_load_b256 s[8:15], s[0:1], 0x0
	s_load_b64 s[4:5], s[0:1], 0x50
	s_mov_b32 s2, ttmp9
	s_mov_b32 s3, 0
	s_delay_alu instid0(SALU_CYCLE_1)
	s_lshl_b64 s[26:27], s[2:3], 3
	s_wait_kmcnt 0x0
	v_cmp_gt_i64_e64 s24, s[6:7], 0
	s_add_nc_u64 s[0:1], s[20:21], s[26:27]
	s_and_b32 vcc_lo, exec_lo, s24
	s_mov_b64 s[24:25], 0
	s_cbranch_vccnz .LBB31_2
; %bb.1:
	s_sub_nc_u64 s[20:21], 1, s[8:9]
	s_delay_alu instid0(SALU_CYCLE_1)
	s_mul_u64 s[24:25], s[6:7], s[20:21]
.LBB31_2:
	s_load_b64 s[20:21], s[0:1], 0x0
	v_dual_mov_b32 v1, 0 :: v_dual_lshlrev_b32 v8, 2, v0
	s_delay_alu instid0(VALU_DEP_1)
	v_cmp_gt_i64_e64 s0, s[8:9], v[0:1]
	s_and_saveexec_b32 s28, s0
	s_cbranch_execz .LBB31_5
; %bb.3:
	s_add_nc_u64 s[12:13], s[12:13], s[26:27]
	v_mad_co_u64_u32 v[2:3], null, s6, v0, 0
	s_load_b64 s[12:13], s[12:13], 0x0
	s_lshl_b64 s[14:15], s[14:15], 2
	s_lshl_b64 s[24:25], s[24:25], 2
	v_lshlrev_b32_e32 v6, 2, v0
	v_mad_co_u64_u32 v[3:4], null, s7, v0, v[3:4]
	v_dual_mov_b32 v5, v1 :: v_dual_mov_b32 v4, v0
	s_lshl_b64 s[6:7], s[6:7], 9
	s_delay_alu instid0(VALU_DEP_2) | instskip(SKIP_2) | instid1(SALU_CYCLE_1)
	v_lshlrev_b64_e32 v[2:3], 2, v[2:3]
	s_wait_kmcnt 0x0
	s_add_nc_u64 s[12:13], s[12:13], s[14:15]
	s_add_nc_u64 s[12:13], s[12:13], s[24:25]
	s_delay_alu instid0(VALU_DEP_1) | instid1(SALU_CYCLE_1)
	v_add_co_u32 v2, vcc_lo, s12, v2
	s_delay_alu instid0(VALU_DEP_1)
	v_add_co_ci_u32_e64 v3, null, s13, v3, vcc_lo
	s_mov_b32 s12, 0
.LBB31_4:                               ; =>This Inner Loop Header: Depth=1
	flat_load_b32 v7, v[2:3]
	v_add_co_u32 v4, vcc_lo, 0x80, v4
	s_wait_alu 0xfffd
	v_add_co_ci_u32_e64 v5, null, 0, v5, vcc_lo
	s_wait_alu 0xfffe
	v_add_co_u32 v2, vcc_lo, v2, s6
	s_wait_alu 0xfffd
	v_add_co_ci_u32_e64 v3, null, s7, v3, vcc_lo
	v_cmp_le_i64_e64 s1, s[8:9], v[4:5]
	s_or_b32 s12, s1, s12
	s_wait_loadcnt_dscnt 0x0
	ds_store_b32 v6, v7
	v_add_nc_u32_e32 v6, 0x200, v6
	s_wait_alu 0xfffe
	s_and_not1_b32 exec_lo, exec_lo, s12
	s_cbranch_execnz .LBB31_4
.LBB31_5:
	s_or_b32 exec_lo, exec_lo, s28
	s_mov_b32 s6, ttmp7
	s_mov_b32 s7, 0
	s_wait_dscnt 0x0
	s_wait_alu 0xfffe
	v_cmp_le_i64_e64 s1, s[10:11], s[6:7]
	s_barrier_signal -1
	s_barrier_wait -1
	global_inv scope:SCOPE_SE
	s_and_b32 vcc_lo, exec_lo, s1
	s_wait_alu 0xfffe
	s_cbranch_vccnz .LBB31_25
; %bb.6:
	s_mul_u64 s[2:3], s[18:19], s[2:3]
	v_dual_mov_b32 v13, 0x2004 :: v_dual_and_b32 v2, 31, v0
	s_lshl_b64 s[12:13], s[2:3], 2
	s_cmp_gt_i32 s8, 1
	s_mul_u64 s[14:15], s[4:5], s[6:7]
	s_cselect_b32 s18, -1, 0
	s_lshl_b64 s[14:15], s[14:15], 2
	s_lshl_b64 s[22:23], s[22:23], 2
	v_cmp_eq_u32_e64 s2, 0, v2
	v_lshlrev_b32_e32 v2, 2, v0
	s_add_nc_u64 s[14:15], s[14:15], s[22:23]
	v_mbcnt_lo_u32_b32 v11, -1, 0
	s_wait_kmcnt 0x0
	s_add_nc_u64 s[14:15], s[20:21], s[14:15]
	v_cmp_gt_i32_e64 s1, s8, v0
	v_add_co_u32 v2, s14, s14, v2
	v_lshrrev_b32_e32 v9, 3, v0
	v_cmp_eq_u32_e64 s3, 0, v0
	v_mov_b32_e32 v10, 0
	s_wait_alu 0xf1ff
	v_add_co_ci_u32_e64 v3, null, s15, 0, s14
	v_lshl_or_b32 v12, v11, 2, 64
	s_wait_alu 0xfffe
	s_add_nc_u64 s[12:13], s[16:17], s[12:13]
	s_lshl_b64 s[14:15], s[4:5], 8
	s_branch .LBB31_8
.LBB31_7:                               ;   in Loop: Header=BB31_8 Depth=1
	s_wait_alu 0xfffe
	s_or_b32 exec_lo, exec_lo, s5
	s_add_nc_u64 s[6:7], s[6:7], 64
	v_add_co_u32 v2, vcc_lo, v2, s14
	s_wait_alu 0xfffe
	v_cmp_ge_i64_e64 s4, s[6:7], s[10:11]
	s_wait_alu 0xfffd
	v_add_co_ci_u32_e64 v3, null, s15, v3, vcc_lo
	s_and_b32 vcc_lo, exec_lo, s4
	s_wait_alu 0xfffe
	s_cbranch_vccnz .LBB31_25
.LBB31_8:                               ; =>This Loop Header: Depth=1
                                        ;     Child Loop BB31_10 Depth 2
                                        ;     Child Loop BB31_24 Depth 2
	v_mov_b32_e32 v6, 0
	s_and_saveexec_b32 s5, s1
	s_cbranch_execz .LBB31_12
; %bb.9:                                ;   in Loop: Header=BB31_8 Depth=1
	v_dual_mov_b32 v6, 0 :: v_dual_mov_b32 v5, v3
	v_dual_mov_b32 v4, v2 :: v_dual_mov_b32 v7, v8
	v_mov_b32_e32 v14, v0
	s_mov_b32 s16, 0
.LBB31_10:                              ;   Parent Loop BB31_8 Depth=1
                                        ; =>  This Inner Loop Header: Depth=2
	flat_load_b32 v15, v[4:5]
	ds_load_b32 v16, v7
	v_add_nc_u32_e32 v14, 0x80, v14
	v_add_co_u32 v4, vcc_lo, 0x200, v4
	v_add_nc_u32_e32 v7, 0x200, v7
	s_wait_alu 0xfffd
	v_add_co_ci_u32_e64 v5, null, 0, v5, vcc_lo
	v_cmp_le_i32_e64 s4, s8, v14
	s_or_b32 s16, s4, s16
	s_wait_loadcnt_dscnt 0x0
	v_fmac_f32_e32 v6, v16, v15
	s_and_not1_b32 exec_lo, exec_lo, s16
	s_cbranch_execnz .LBB31_10
; %bb.11:                               ;   in Loop: Header=BB31_8 Depth=1
	s_or_b32 exec_lo, exec_lo, s16
.LBB31_12:                              ;   in Loop: Header=BB31_8 Depth=1
	s_wait_alu 0xfffe
	s_or_b32 exec_lo, exec_lo, s5
	s_delay_alu instid0(SALU_CYCLE_1)
	s_and_b32 vcc_lo, exec_lo, s18
	s_wait_alu 0xfffe
	s_cbranch_vccz .LBB31_19
; %bb.13:                               ;   in Loop: Header=BB31_8 Depth=1
	v_cmp_ne_u32_e32 vcc_lo, 31, v11
	s_wait_alu 0xfffd
	v_add_co_ci_u32_e64 v4, null, 0, v11, vcc_lo
	v_cmp_gt_u32_e32 vcc_lo, 30, v11
	s_delay_alu instid0(VALU_DEP_2)
	v_lshlrev_b32_e32 v4, 2, v4
	s_wait_alu 0xfffd
	v_cndmask_b32_e64 v5, 0, 2, vcc_lo
	v_cmp_gt_u32_e32 vcc_lo, 28, v11
	ds_bpermute_b32 v4, v4, v6
	v_add_lshl_u32 v5, v5, v11, 2
	s_wait_alu 0xfffd
	v_cndmask_b32_e64 v7, 0, 4, vcc_lo
	v_cmp_gt_u32_e32 vcc_lo, 24, v11
	s_delay_alu instid0(VALU_DEP_2)
	v_add_lshl_u32 v7, v7, v11, 2
	s_wait_dscnt 0x0
	v_add_f32_e32 v4, v6, v4
	ds_bpermute_b32 v5, v5, v4
	s_wait_dscnt 0x0
	v_add_f32_e32 v4, v4, v5
	ds_bpermute_b32 v5, v7, v4
	s_wait_alu 0xfffd
	v_cndmask_b32_e64 v7, 0, 8, vcc_lo
	s_wait_dscnt 0x0
	v_add_f32_e32 v4, v4, v5
	s_delay_alu instid0(VALU_DEP_2)
	v_add_lshl_u32 v5, v7, v11, 2
	ds_bpermute_b32 v5, v5, v4
	s_wait_dscnt 0x0
	v_add_f32_e32 v4, v4, v5
	ds_bpermute_b32 v5, v12, v4
	s_wait_dscnt 0x0
	v_add_f32_e32 v5, v4, v5
	s_and_saveexec_b32 s4, s2
; %bb.14:                               ;   in Loop: Header=BB31_8 Depth=1
	ds_store_b32 v9, v5 offset:8192
; %bb.15:                               ;   in Loop: Header=BB31_8 Depth=1
	s_wait_alu 0xfffe
	s_or_b32 exec_lo, exec_lo, s4
	s_mov_b32 s5, 0
	s_mov_b32 s4, 0
	s_wait_loadcnt_dscnt 0x0
	s_barrier_signal -1
	s_barrier_wait -1
	global_inv scope:SCOPE_SE
                                        ; implicit-def: $vgpr4
	s_and_saveexec_b32 s16, s3
	s_delay_alu instid0(SALU_CYCLE_1)
	s_xor_b32 s16, exec_lo, s16
	s_cbranch_execz .LBB31_17
; %bb.16:                               ;   in Loop: Header=BB31_8 Depth=1
	ds_load_2addr_b32 v[14:15], v13 offset1:1
	ds_load_b32 v4, v10 offset:8204
	s_mov_b32 s4, exec_lo
	s_wait_dscnt 0x1
	v_add_f32_e32 v5, v5, v14
	s_delay_alu instid0(VALU_DEP_1) | instskip(SKIP_1) | instid1(VALU_DEP_1)
	v_add_f32_e32 v5, v5, v15
	s_wait_dscnt 0x0
	v_add_f32_e32 v4, v5, v4
.LBB31_17:                              ;   in Loop: Header=BB31_8 Depth=1
	s_or_b32 exec_lo, exec_lo, s16
	s_wait_alu 0xfffe
	s_and_b32 vcc_lo, exec_lo, s5
	s_wait_alu 0xfffe
	s_cbranch_vccnz .LBB31_20
.LBB31_18:                              ;   in Loop: Header=BB31_8 Depth=1
	v_mov_b32_e32 v6, v4
	s_wait_alu 0xfffe
	s_and_saveexec_b32 s5, s4
	s_cbranch_execnz .LBB31_21
	s_branch .LBB31_22
.LBB31_19:                              ;   in Loop: Header=BB31_8 Depth=1
	s_mov_b32 s4, 0
                                        ; implicit-def: $vgpr4
	s_cbranch_execz .LBB31_18
.LBB31_20:                              ;   in Loop: Header=BB31_8 Depth=1
	s_wait_alu 0xfffe
	s_and_not1_b32 s4, s4, exec_lo
	s_and_b32 s5, s3, exec_lo
	s_wait_alu 0xfffe
	s_or_b32 s4, s4, s5
	s_wait_alu 0xfffe
	s_and_saveexec_b32 s5, s4
.LBB31_21:                              ;   in Loop: Header=BB31_8 Depth=1
	ds_store_b32 v10, v6 offset:8192
.LBB31_22:                              ;   in Loop: Header=BB31_8 Depth=1
	s_wait_alu 0xfffe
	s_or_b32 exec_lo, exec_lo, s5
	s_wait_loadcnt_dscnt 0x0
	s_barrier_signal -1
	s_barrier_wait -1
	global_inv scope:SCOPE_SE
	s_and_saveexec_b32 s5, s0
	s_cbranch_execz .LBB31_7
; %bb.23:                               ;   in Loop: Header=BB31_8 Depth=1
	global_load_b32 v4, v10, s[12:13]
	ds_load_b32 v6, v10 offset:8192
	s_mov_b32 s16, 0
	s_wait_loadcnt 0x0
	v_xor_b32_e32 v7, 0x80000000, v4
	v_dual_mov_b32 v5, v3 :: v_dual_mov_b32 v4, v2
	s_wait_dscnt 0x0
	s_delay_alu instid0(VALU_DEP_2)
	v_dual_mov_b32 v14, v8 :: v_dual_mul_f32 v15, v6, v7
	v_dual_mov_b32 v7, v1 :: v_dual_mov_b32 v6, v0
.LBB31_24:                              ;   Parent Loop BB31_8 Depth=1
                                        ; =>  This Inner Loop Header: Depth=2
	flat_load_b32 v16, v[4:5]
	ds_load_b32 v17, v14
	v_add_co_u32 v6, vcc_lo, 0x80, v6
	s_wait_alu 0xfffd
	v_add_co_ci_u32_e64 v7, null, 0, v7, vcc_lo
	v_add_nc_u32_e32 v14, 0x200, v14
	s_delay_alu instid0(VALU_DEP_2)
	v_cmp_le_i64_e32 vcc_lo, s[8:9], v[6:7]
	s_or_b32 s16, vcc_lo, s16
	s_wait_loadcnt_dscnt 0x0
	v_fmac_f32_e32 v16, v15, v17
	flat_store_b32 v[4:5], v16
	v_add_co_u32 v4, s4, 0x200, v4
	s_wait_alu 0xf1ff
	v_add_co_ci_u32_e64 v5, null, 0, v5, s4
	s_and_not1_b32 exec_lo, exec_lo, s16
	s_cbranch_execnz .LBB31_24
	s_branch .LBB31_7
.LBB31_25:
	s_endpgm
	.section	.rodata,"a",@progbits
	.p2align	6, 0x0
	.amdhsa_kernel _ZN9rocsolver6v33100L22larf_left_kernel_smallILi128EflPKPfEEvT1_S5_T2_lS5_lPKT0_lS6_lS5_l
		.amdhsa_group_segment_fixed_size 8704
		.amdhsa_private_segment_fixed_size 0
		.amdhsa_kernarg_size 96
		.amdhsa_user_sgpr_count 2
		.amdhsa_user_sgpr_dispatch_ptr 0
		.amdhsa_user_sgpr_queue_ptr 0
		.amdhsa_user_sgpr_kernarg_segment_ptr 1
		.amdhsa_user_sgpr_dispatch_id 0
		.amdhsa_user_sgpr_private_segment_size 0
		.amdhsa_wavefront_size32 1
		.amdhsa_uses_dynamic_stack 0
		.amdhsa_enable_private_segment 0
		.amdhsa_system_sgpr_workgroup_id_x 1
		.amdhsa_system_sgpr_workgroup_id_y 1
		.amdhsa_system_sgpr_workgroup_id_z 0
		.amdhsa_system_sgpr_workgroup_info 0
		.amdhsa_system_vgpr_workitem_id 0
		.amdhsa_next_free_vgpr 18
		.amdhsa_next_free_sgpr 29
		.amdhsa_reserve_vcc 1
		.amdhsa_float_round_mode_32 0
		.amdhsa_float_round_mode_16_64 0
		.amdhsa_float_denorm_mode_32 3
		.amdhsa_float_denorm_mode_16_64 3
		.amdhsa_fp16_overflow 0
		.amdhsa_workgroup_processor_mode 1
		.amdhsa_memory_ordered 1
		.amdhsa_forward_progress 1
		.amdhsa_inst_pref_size 11
		.amdhsa_round_robin_scheduling 0
		.amdhsa_exception_fp_ieee_invalid_op 0
		.amdhsa_exception_fp_denorm_src 0
		.amdhsa_exception_fp_ieee_div_zero 0
		.amdhsa_exception_fp_ieee_overflow 0
		.amdhsa_exception_fp_ieee_underflow 0
		.amdhsa_exception_fp_ieee_inexact 0
		.amdhsa_exception_int_div_zero 0
	.end_amdhsa_kernel
	.section	.text._ZN9rocsolver6v33100L22larf_left_kernel_smallILi128EflPKPfEEvT1_S5_T2_lS5_lPKT0_lS6_lS5_l,"axG",@progbits,_ZN9rocsolver6v33100L22larf_left_kernel_smallILi128EflPKPfEEvT1_S5_T2_lS5_lPKT0_lS6_lS5_l,comdat
.Lfunc_end31:
	.size	_ZN9rocsolver6v33100L22larf_left_kernel_smallILi128EflPKPfEEvT1_S5_T2_lS5_lPKT0_lS6_lS5_l, .Lfunc_end31-_ZN9rocsolver6v33100L22larf_left_kernel_smallILi128EflPKPfEEvT1_S5_T2_lS5_lPKT0_lS6_lS5_l
                                        ; -- End function
	.set _ZN9rocsolver6v33100L22larf_left_kernel_smallILi128EflPKPfEEvT1_S5_T2_lS5_lPKT0_lS6_lS5_l.num_vgpr, 18
	.set _ZN9rocsolver6v33100L22larf_left_kernel_smallILi128EflPKPfEEvT1_S5_T2_lS5_lPKT0_lS6_lS5_l.num_agpr, 0
	.set _ZN9rocsolver6v33100L22larf_left_kernel_smallILi128EflPKPfEEvT1_S5_T2_lS5_lPKT0_lS6_lS5_l.numbered_sgpr, 29
	.set _ZN9rocsolver6v33100L22larf_left_kernel_smallILi128EflPKPfEEvT1_S5_T2_lS5_lPKT0_lS6_lS5_l.num_named_barrier, 0
	.set _ZN9rocsolver6v33100L22larf_left_kernel_smallILi128EflPKPfEEvT1_S5_T2_lS5_lPKT0_lS6_lS5_l.private_seg_size, 0
	.set _ZN9rocsolver6v33100L22larf_left_kernel_smallILi128EflPKPfEEvT1_S5_T2_lS5_lPKT0_lS6_lS5_l.uses_vcc, 1
	.set _ZN9rocsolver6v33100L22larf_left_kernel_smallILi128EflPKPfEEvT1_S5_T2_lS5_lPKT0_lS6_lS5_l.uses_flat_scratch, 0
	.set _ZN9rocsolver6v33100L22larf_left_kernel_smallILi128EflPKPfEEvT1_S5_T2_lS5_lPKT0_lS6_lS5_l.has_dyn_sized_stack, 0
	.set _ZN9rocsolver6v33100L22larf_left_kernel_smallILi128EflPKPfEEvT1_S5_T2_lS5_lPKT0_lS6_lS5_l.has_recursion, 0
	.set _ZN9rocsolver6v33100L22larf_left_kernel_smallILi128EflPKPfEEvT1_S5_T2_lS5_lPKT0_lS6_lS5_l.has_indirect_call, 0
	.section	.AMDGPU.csdata,"",@progbits
; Kernel info:
; codeLenInByte = 1352
; TotalNumSgprs: 31
; NumVgprs: 18
; ScratchSize: 0
; MemoryBound: 0
; FloatMode: 240
; IeeeMode: 1
; LDSByteSize: 8704 bytes/workgroup (compile time only)
; SGPRBlocks: 0
; VGPRBlocks: 2
; NumSGPRsForWavesPerEU: 31
; NumVGPRsForWavesPerEU: 18
; Occupancy: 15
; WaveLimiterHint : 0
; COMPUTE_PGM_RSRC2:SCRATCH_EN: 0
; COMPUTE_PGM_RSRC2:USER_SGPR: 2
; COMPUTE_PGM_RSRC2:TRAP_HANDLER: 0
; COMPUTE_PGM_RSRC2:TGID_X_EN: 1
; COMPUTE_PGM_RSRC2:TGID_Y_EN: 1
; COMPUTE_PGM_RSRC2:TGID_Z_EN: 0
; COMPUTE_PGM_RSRC2:TIDIG_COMP_CNT: 0
	.section	.text._ZN9rocsolver6v33100L22larf_left_kernel_smallILi256EflPKPfEEvT1_S5_T2_lS5_lPKT0_lS6_lS5_l,"axG",@progbits,_ZN9rocsolver6v33100L22larf_left_kernel_smallILi256EflPKPfEEvT1_S5_T2_lS5_lPKT0_lS6_lS5_l,comdat
	.globl	_ZN9rocsolver6v33100L22larf_left_kernel_smallILi256EflPKPfEEvT1_S5_T2_lS5_lPKT0_lS6_lS5_l ; -- Begin function _ZN9rocsolver6v33100L22larf_left_kernel_smallILi256EflPKPfEEvT1_S5_T2_lS5_lPKT0_lS6_lS5_l
	.p2align	8
	.type	_ZN9rocsolver6v33100L22larf_left_kernel_smallILi256EflPKPfEEvT1_S5_T2_lS5_lPKT0_lS6_lS5_l,@function
_ZN9rocsolver6v33100L22larf_left_kernel_smallILi256EflPKPfEEvT1_S5_T2_lS5_lPKT0_lS6_lS5_l: ; @_ZN9rocsolver6v33100L22larf_left_kernel_smallILi256EflPKPfEEvT1_S5_T2_lS5_lPKT0_lS6_lS5_l
; %bb.0:
	s_clause 0x3
	s_load_b64 s[6:7], s[0:1], 0x20
	s_load_b256 s[16:23], s[0:1], 0x30
	s_load_b256 s[8:15], s[0:1], 0x0
	s_load_b64 s[4:5], s[0:1], 0x50
	s_mov_b32 s2, ttmp9
	s_mov_b32 s3, 0
	s_delay_alu instid0(SALU_CYCLE_1)
	s_lshl_b64 s[26:27], s[2:3], 3
	s_wait_kmcnt 0x0
	v_cmp_gt_i64_e64 s24, s[6:7], 0
	s_add_nc_u64 s[0:1], s[20:21], s[26:27]
	s_and_b32 vcc_lo, exec_lo, s24
	s_mov_b64 s[24:25], 0
	s_cbranch_vccnz .LBB32_2
; %bb.1:
	s_sub_nc_u64 s[20:21], 1, s[8:9]
	s_delay_alu instid0(SALU_CYCLE_1)
	s_mul_u64 s[24:25], s[6:7], s[20:21]
.LBB32_2:
	s_load_b64 s[20:21], s[0:1], 0x0
	v_dual_mov_b32 v1, 0 :: v_dual_lshlrev_b32 v8, 2, v0
	s_delay_alu instid0(VALU_DEP_1)
	v_cmp_gt_i64_e64 s0, s[8:9], v[0:1]
	s_and_saveexec_b32 s28, s0
	s_cbranch_execz .LBB32_5
; %bb.3:
	s_add_nc_u64 s[12:13], s[12:13], s[26:27]
	v_mad_co_u64_u32 v[2:3], null, s6, v0, 0
	s_load_b64 s[12:13], s[12:13], 0x0
	s_lshl_b64 s[14:15], s[14:15], 2
	s_lshl_b64 s[24:25], s[24:25], 2
	v_lshlrev_b32_e32 v6, 2, v0
	v_mad_co_u64_u32 v[3:4], null, s7, v0, v[3:4]
	v_dual_mov_b32 v5, v1 :: v_dual_mov_b32 v4, v0
	s_lshl_b64 s[6:7], s[6:7], 10
	s_delay_alu instid0(VALU_DEP_2) | instskip(SKIP_2) | instid1(SALU_CYCLE_1)
	v_lshlrev_b64_e32 v[2:3], 2, v[2:3]
	s_wait_kmcnt 0x0
	s_add_nc_u64 s[12:13], s[12:13], s[14:15]
	s_add_nc_u64 s[12:13], s[12:13], s[24:25]
	s_delay_alu instid0(VALU_DEP_1) | instid1(SALU_CYCLE_1)
	v_add_co_u32 v2, vcc_lo, s12, v2
	s_delay_alu instid0(VALU_DEP_1)
	v_add_co_ci_u32_e64 v3, null, s13, v3, vcc_lo
	s_mov_b32 s12, 0
.LBB32_4:                               ; =>This Inner Loop Header: Depth=1
	flat_load_b32 v7, v[2:3]
	v_add_co_u32 v4, vcc_lo, 0x100, v4
	s_wait_alu 0xfffd
	v_add_co_ci_u32_e64 v5, null, 0, v5, vcc_lo
	s_wait_alu 0xfffe
	v_add_co_u32 v2, vcc_lo, v2, s6
	s_wait_alu 0xfffd
	v_add_co_ci_u32_e64 v3, null, s7, v3, vcc_lo
	v_cmp_le_i64_e64 s1, s[8:9], v[4:5]
	s_or_b32 s12, s1, s12
	s_wait_loadcnt_dscnt 0x0
	ds_store_b32 v6, v7
	v_add_nc_u32_e32 v6, 0x400, v6
	s_wait_alu 0xfffe
	s_and_not1_b32 exec_lo, exec_lo, s12
	s_cbranch_execnz .LBB32_4
.LBB32_5:
	s_or_b32 exec_lo, exec_lo, s28
	s_mov_b32 s6, ttmp7
	s_mov_b32 s7, 0
	s_wait_dscnt 0x0
	s_wait_alu 0xfffe
	v_cmp_le_i64_e64 s1, s[10:11], s[6:7]
	s_barrier_signal -1
	s_barrier_wait -1
	global_inv scope:SCOPE_SE
	s_and_b32 vcc_lo, exec_lo, s1
	s_wait_alu 0xfffe
	s_cbranch_vccnz .LBB32_25
; %bb.6:
	s_mul_u64 s[2:3], s[18:19], s[2:3]
	v_dual_mov_b32 v13, 0x2004 :: v_dual_and_b32 v2, 31, v0
	s_lshl_b64 s[12:13], s[2:3], 2
	s_cmp_gt_i32 s8, 1
	s_mul_u64 s[14:15], s[4:5], s[6:7]
	s_cselect_b32 s18, -1, 0
	s_lshl_b64 s[14:15], s[14:15], 2
	s_lshl_b64 s[22:23], s[22:23], 2
	v_cmp_eq_u32_e64 s2, 0, v2
	v_dual_mov_b32 v15, 0x2014 :: v_dual_lshlrev_b32 v2, 2, v0
	s_add_nc_u64 s[14:15], s[14:15], s[22:23]
	v_mbcnt_lo_u32_b32 v11, -1, 0
	s_wait_kmcnt 0x0
	s_add_nc_u64 s[14:15], s[20:21], s[14:15]
	v_cmp_gt_i32_e64 s1, s8, v0
	v_add_co_u32 v2, s14, s14, v2
	v_lshrrev_b32_e32 v9, 3, v0
	v_cmp_eq_u32_e64 s3, 0, v0
	v_mov_b32_e32 v10, 0
	s_wait_alu 0xf1ff
	v_add_co_ci_u32_e64 v3, null, s15, 0, s14
	v_lshl_or_b32 v12, v11, 2, 64
	v_mov_b32_e32 v14, 0x200c
	s_wait_alu 0xfffe
	s_add_nc_u64 s[12:13], s[16:17], s[12:13]
	s_lshl_b64 s[14:15], s[4:5], 8
	s_branch .LBB32_8
.LBB32_7:                               ;   in Loop: Header=BB32_8 Depth=1
	s_wait_alu 0xfffe
	s_or_b32 exec_lo, exec_lo, s5
	s_add_nc_u64 s[6:7], s[6:7], 64
	v_add_co_u32 v2, vcc_lo, v2, s14
	s_wait_alu 0xfffe
	v_cmp_ge_i64_e64 s4, s[6:7], s[10:11]
	s_wait_alu 0xfffd
	v_add_co_ci_u32_e64 v3, null, s15, v3, vcc_lo
	s_and_b32 vcc_lo, exec_lo, s4
	s_wait_alu 0xfffe
	s_cbranch_vccnz .LBB32_25
.LBB32_8:                               ; =>This Loop Header: Depth=1
                                        ;     Child Loop BB32_10 Depth 2
                                        ;     Child Loop BB32_24 Depth 2
	v_mov_b32_e32 v6, 0
	s_and_saveexec_b32 s5, s1
	s_cbranch_execz .LBB32_12
; %bb.9:                                ;   in Loop: Header=BB32_8 Depth=1
	v_dual_mov_b32 v6, 0 :: v_dual_mov_b32 v5, v3
	v_dual_mov_b32 v4, v2 :: v_dual_mov_b32 v7, v8
	v_mov_b32_e32 v16, v0
	s_mov_b32 s16, 0
.LBB32_10:                              ;   Parent Loop BB32_8 Depth=1
                                        ; =>  This Inner Loop Header: Depth=2
	flat_load_b32 v17, v[4:5]
	ds_load_b32 v18, v7
	v_add_nc_u32_e32 v16, 0x100, v16
	v_add_co_u32 v4, vcc_lo, 0x400, v4
	v_add_nc_u32_e32 v7, 0x400, v7
	s_wait_alu 0xfffd
	v_add_co_ci_u32_e64 v5, null, 0, v5, vcc_lo
	v_cmp_le_i32_e64 s4, s8, v16
	s_or_b32 s16, s4, s16
	s_wait_loadcnt_dscnt 0x0
	v_fmac_f32_e32 v6, v18, v17
	s_and_not1_b32 exec_lo, exec_lo, s16
	s_cbranch_execnz .LBB32_10
; %bb.11:                               ;   in Loop: Header=BB32_8 Depth=1
	s_or_b32 exec_lo, exec_lo, s16
.LBB32_12:                              ;   in Loop: Header=BB32_8 Depth=1
	s_wait_alu 0xfffe
	s_or_b32 exec_lo, exec_lo, s5
	s_delay_alu instid0(SALU_CYCLE_1)
	s_and_b32 vcc_lo, exec_lo, s18
	s_wait_alu 0xfffe
	s_cbranch_vccz .LBB32_19
; %bb.13:                               ;   in Loop: Header=BB32_8 Depth=1
	v_cmp_ne_u32_e32 vcc_lo, 31, v11
	s_wait_alu 0xfffd
	v_add_co_ci_u32_e64 v4, null, 0, v11, vcc_lo
	v_cmp_gt_u32_e32 vcc_lo, 30, v11
	s_delay_alu instid0(VALU_DEP_2)
	v_lshlrev_b32_e32 v4, 2, v4
	s_wait_alu 0xfffd
	v_cndmask_b32_e64 v5, 0, 2, vcc_lo
	v_cmp_gt_u32_e32 vcc_lo, 28, v11
	ds_bpermute_b32 v4, v4, v6
	v_add_lshl_u32 v5, v5, v11, 2
	s_wait_alu 0xfffd
	v_cndmask_b32_e64 v7, 0, 4, vcc_lo
	v_cmp_gt_u32_e32 vcc_lo, 24, v11
	s_delay_alu instid0(VALU_DEP_2)
	v_add_lshl_u32 v7, v7, v11, 2
	s_wait_dscnt 0x0
	v_add_f32_e32 v4, v6, v4
	ds_bpermute_b32 v5, v5, v4
	s_wait_dscnt 0x0
	v_add_f32_e32 v4, v4, v5
	ds_bpermute_b32 v5, v7, v4
	s_wait_alu 0xfffd
	v_cndmask_b32_e64 v7, 0, 8, vcc_lo
	s_wait_dscnt 0x0
	v_add_f32_e32 v4, v4, v5
	s_delay_alu instid0(VALU_DEP_2)
	v_add_lshl_u32 v5, v7, v11, 2
	ds_bpermute_b32 v5, v5, v4
	s_wait_dscnt 0x0
	v_add_f32_e32 v4, v4, v5
	ds_bpermute_b32 v5, v12, v4
	s_wait_dscnt 0x0
	v_add_f32_e32 v4, v4, v5
	s_and_saveexec_b32 s4, s2
; %bb.14:                               ;   in Loop: Header=BB32_8 Depth=1
	ds_store_b32 v9, v4 offset:8192
; %bb.15:                               ;   in Loop: Header=BB32_8 Depth=1
	s_wait_alu 0xfffe
	s_or_b32 exec_lo, exec_lo, s4
	s_mov_b32 s5, 0
	s_mov_b32 s4, 0
	s_wait_loadcnt_dscnt 0x0
	s_barrier_signal -1
	s_barrier_wait -1
	global_inv scope:SCOPE_SE
                                        ; implicit-def: $vgpr5
	s_and_saveexec_b32 s16, s3
	s_delay_alu instid0(SALU_CYCLE_1)
	s_xor_b32 s16, exec_lo, s16
	s_cbranch_execz .LBB32_17
; %bb.16:                               ;   in Loop: Header=BB32_8 Depth=1
	ds_load_2addr_b32 v[16:17], v13 offset1:1
	ds_load_2addr_b32 v[18:19], v14 offset1:1
	;; [unrolled: 1-line block ×3, first 2 shown]
	ds_load_b32 v5, v10 offset:8220
	s_mov_b32 s4, exec_lo
	s_wait_dscnt 0x3
	v_add_f32_e32 v4, v4, v16
	s_delay_alu instid0(VALU_DEP_1) | instskip(SKIP_1) | instid1(VALU_DEP_1)
	v_add_f32_e32 v4, v4, v17
	s_wait_dscnt 0x2
	v_add_f32_e32 v4, v4, v18
	s_delay_alu instid0(VALU_DEP_1) | instskip(SKIP_1) | instid1(VALU_DEP_1)
	v_add_f32_e32 v4, v4, v19
	;; [unrolled: 4-line block ×3, first 2 shown]
	s_wait_dscnt 0x0
	v_add_f32_e32 v5, v4, v5
.LBB32_17:                              ;   in Loop: Header=BB32_8 Depth=1
	s_or_b32 exec_lo, exec_lo, s16
	s_wait_alu 0xfffe
	s_and_b32 vcc_lo, exec_lo, s5
	s_wait_alu 0xfffe
	s_cbranch_vccnz .LBB32_20
.LBB32_18:                              ;   in Loop: Header=BB32_8 Depth=1
	v_mov_b32_e32 v6, v5
	s_wait_alu 0xfffe
	s_and_saveexec_b32 s5, s4
	s_cbranch_execnz .LBB32_21
	s_branch .LBB32_22
.LBB32_19:                              ;   in Loop: Header=BB32_8 Depth=1
	s_mov_b32 s4, 0
                                        ; implicit-def: $vgpr5
	s_cbranch_execz .LBB32_18
.LBB32_20:                              ;   in Loop: Header=BB32_8 Depth=1
	s_wait_alu 0xfffe
	s_and_not1_b32 s4, s4, exec_lo
	s_and_b32 s5, s3, exec_lo
	s_wait_alu 0xfffe
	s_or_b32 s4, s4, s5
	s_wait_alu 0xfffe
	s_and_saveexec_b32 s5, s4
.LBB32_21:                              ;   in Loop: Header=BB32_8 Depth=1
	ds_store_b32 v10, v6 offset:8192
.LBB32_22:                              ;   in Loop: Header=BB32_8 Depth=1
	s_wait_alu 0xfffe
	s_or_b32 exec_lo, exec_lo, s5
	s_wait_loadcnt_dscnt 0x0
	s_barrier_signal -1
	s_barrier_wait -1
	global_inv scope:SCOPE_SE
	s_and_saveexec_b32 s5, s0
	s_cbranch_execz .LBB32_7
; %bb.23:                               ;   in Loop: Header=BB32_8 Depth=1
	global_load_b32 v4, v10, s[12:13]
	ds_load_b32 v6, v10 offset:8192
	s_mov_b32 s16, 0
	s_wait_loadcnt 0x0
	v_xor_b32_e32 v7, 0x80000000, v4
	v_dual_mov_b32 v5, v3 :: v_dual_mov_b32 v4, v2
	s_wait_dscnt 0x0
	s_delay_alu instid0(VALU_DEP_2)
	v_dual_mov_b32 v16, v8 :: v_dual_mul_f32 v17, v6, v7
	v_dual_mov_b32 v7, v1 :: v_dual_mov_b32 v6, v0
.LBB32_24:                              ;   Parent Loop BB32_8 Depth=1
                                        ; =>  This Inner Loop Header: Depth=2
	flat_load_b32 v18, v[4:5]
	ds_load_b32 v19, v16
	v_add_co_u32 v6, vcc_lo, 0x100, v6
	s_wait_alu 0xfffd
	v_add_co_ci_u32_e64 v7, null, 0, v7, vcc_lo
	v_add_nc_u32_e32 v16, 0x400, v16
	s_delay_alu instid0(VALU_DEP_2)
	v_cmp_le_i64_e32 vcc_lo, s[8:9], v[6:7]
	s_or_b32 s16, vcc_lo, s16
	s_wait_loadcnt_dscnt 0x0
	v_fmac_f32_e32 v18, v17, v19
	flat_store_b32 v[4:5], v18
	v_add_co_u32 v4, s4, 0x400, v4
	s_wait_alu 0xf1ff
	v_add_co_ci_u32_e64 v5, null, 0, v5, s4
	s_and_not1_b32 exec_lo, exec_lo, s16
	s_cbranch_execnz .LBB32_24
	s_branch .LBB32_7
.LBB32_25:
	s_endpgm
	.section	.rodata,"a",@progbits
	.p2align	6, 0x0
	.amdhsa_kernel _ZN9rocsolver6v33100L22larf_left_kernel_smallILi256EflPKPfEEvT1_S5_T2_lS5_lPKT0_lS6_lS5_l
		.amdhsa_group_segment_fixed_size 9216
		.amdhsa_private_segment_fixed_size 0
		.amdhsa_kernarg_size 96
		.amdhsa_user_sgpr_count 2
		.amdhsa_user_sgpr_dispatch_ptr 0
		.amdhsa_user_sgpr_queue_ptr 0
		.amdhsa_user_sgpr_kernarg_segment_ptr 1
		.amdhsa_user_sgpr_dispatch_id 0
		.amdhsa_user_sgpr_private_segment_size 0
		.amdhsa_wavefront_size32 1
		.amdhsa_uses_dynamic_stack 0
		.amdhsa_enable_private_segment 0
		.amdhsa_system_sgpr_workgroup_id_x 1
		.amdhsa_system_sgpr_workgroup_id_y 1
		.amdhsa_system_sgpr_workgroup_id_z 0
		.amdhsa_system_sgpr_workgroup_info 0
		.amdhsa_system_vgpr_workitem_id 0
		.amdhsa_next_free_vgpr 22
		.amdhsa_next_free_sgpr 29
		.amdhsa_reserve_vcc 1
		.amdhsa_float_round_mode_32 0
		.amdhsa_float_round_mode_16_64 0
		.amdhsa_float_denorm_mode_32 3
		.amdhsa_float_denorm_mode_16_64 3
		.amdhsa_fp16_overflow 0
		.amdhsa_workgroup_processor_mode 1
		.amdhsa_memory_ordered 1
		.amdhsa_forward_progress 1
		.amdhsa_inst_pref_size 12
		.amdhsa_round_robin_scheduling 0
		.amdhsa_exception_fp_ieee_invalid_op 0
		.amdhsa_exception_fp_denorm_src 0
		.amdhsa_exception_fp_ieee_div_zero 0
		.amdhsa_exception_fp_ieee_overflow 0
		.amdhsa_exception_fp_ieee_underflow 0
		.amdhsa_exception_fp_ieee_inexact 0
		.amdhsa_exception_int_div_zero 0
	.end_amdhsa_kernel
	.section	.text._ZN9rocsolver6v33100L22larf_left_kernel_smallILi256EflPKPfEEvT1_S5_T2_lS5_lPKT0_lS6_lS5_l,"axG",@progbits,_ZN9rocsolver6v33100L22larf_left_kernel_smallILi256EflPKPfEEvT1_S5_T2_lS5_lPKT0_lS6_lS5_l,comdat
.Lfunc_end32:
	.size	_ZN9rocsolver6v33100L22larf_left_kernel_smallILi256EflPKPfEEvT1_S5_T2_lS5_lPKT0_lS6_lS5_l, .Lfunc_end32-_ZN9rocsolver6v33100L22larf_left_kernel_smallILi256EflPKPfEEvT1_S5_T2_lS5_lPKT0_lS6_lS5_l
                                        ; -- End function
	.set _ZN9rocsolver6v33100L22larf_left_kernel_smallILi256EflPKPfEEvT1_S5_T2_lS5_lPKT0_lS6_lS5_l.num_vgpr, 22
	.set _ZN9rocsolver6v33100L22larf_left_kernel_smallILi256EflPKPfEEvT1_S5_T2_lS5_lPKT0_lS6_lS5_l.num_agpr, 0
	.set _ZN9rocsolver6v33100L22larf_left_kernel_smallILi256EflPKPfEEvT1_S5_T2_lS5_lPKT0_lS6_lS5_l.numbered_sgpr, 29
	.set _ZN9rocsolver6v33100L22larf_left_kernel_smallILi256EflPKPfEEvT1_S5_T2_lS5_lPKT0_lS6_lS5_l.num_named_barrier, 0
	.set _ZN9rocsolver6v33100L22larf_left_kernel_smallILi256EflPKPfEEvT1_S5_T2_lS5_lPKT0_lS6_lS5_l.private_seg_size, 0
	.set _ZN9rocsolver6v33100L22larf_left_kernel_smallILi256EflPKPfEEvT1_S5_T2_lS5_lPKT0_lS6_lS5_l.uses_vcc, 1
	.set _ZN9rocsolver6v33100L22larf_left_kernel_smallILi256EflPKPfEEvT1_S5_T2_lS5_lPKT0_lS6_lS5_l.uses_flat_scratch, 0
	.set _ZN9rocsolver6v33100L22larf_left_kernel_smallILi256EflPKPfEEvT1_S5_T2_lS5_lPKT0_lS6_lS5_l.has_dyn_sized_stack, 0
	.set _ZN9rocsolver6v33100L22larf_left_kernel_smallILi256EflPKPfEEvT1_S5_T2_lS5_lPKT0_lS6_lS5_l.has_recursion, 0
	.set _ZN9rocsolver6v33100L22larf_left_kernel_smallILi256EflPKPfEEvT1_S5_T2_lS5_lPKT0_lS6_lS5_l.has_indirect_call, 0
	.section	.AMDGPU.csdata,"",@progbits
; Kernel info:
; codeLenInByte = 1416
; TotalNumSgprs: 31
; NumVgprs: 22
; ScratchSize: 0
; MemoryBound: 0
; FloatMode: 240
; IeeeMode: 1
; LDSByteSize: 9216 bytes/workgroup (compile time only)
; SGPRBlocks: 0
; VGPRBlocks: 2
; NumSGPRsForWavesPerEU: 31
; NumVGPRsForWavesPerEU: 22
; Occupancy: 16
; WaveLimiterHint : 0
; COMPUTE_PGM_RSRC2:SCRATCH_EN: 0
; COMPUTE_PGM_RSRC2:USER_SGPR: 2
; COMPUTE_PGM_RSRC2:TRAP_HANDLER: 0
; COMPUTE_PGM_RSRC2:TGID_X_EN: 1
; COMPUTE_PGM_RSRC2:TGID_Y_EN: 1
; COMPUTE_PGM_RSRC2:TGID_Z_EN: 0
; COMPUTE_PGM_RSRC2:TIDIG_COMP_CNT: 0
	.section	.text._ZN9rocsolver6v33100L22larf_left_kernel_smallILi512EflPKPfEEvT1_S5_T2_lS5_lPKT0_lS6_lS5_l,"axG",@progbits,_ZN9rocsolver6v33100L22larf_left_kernel_smallILi512EflPKPfEEvT1_S5_T2_lS5_lPKT0_lS6_lS5_l,comdat
	.globl	_ZN9rocsolver6v33100L22larf_left_kernel_smallILi512EflPKPfEEvT1_S5_T2_lS5_lPKT0_lS6_lS5_l ; -- Begin function _ZN9rocsolver6v33100L22larf_left_kernel_smallILi512EflPKPfEEvT1_S5_T2_lS5_lPKT0_lS6_lS5_l
	.p2align	8
	.type	_ZN9rocsolver6v33100L22larf_left_kernel_smallILi512EflPKPfEEvT1_S5_T2_lS5_lPKT0_lS6_lS5_l,@function
_ZN9rocsolver6v33100L22larf_left_kernel_smallILi512EflPKPfEEvT1_S5_T2_lS5_lPKT0_lS6_lS5_l: ; @_ZN9rocsolver6v33100L22larf_left_kernel_smallILi512EflPKPfEEvT1_S5_T2_lS5_lPKT0_lS6_lS5_l
; %bb.0:
	s_clause 0x3
	s_load_b64 s[6:7], s[0:1], 0x20
	s_load_b256 s[16:23], s[0:1], 0x30
	s_load_b256 s[8:15], s[0:1], 0x0
	s_load_b64 s[4:5], s[0:1], 0x50
	s_mov_b32 s2, ttmp9
	s_mov_b32 s3, 0
	s_delay_alu instid0(SALU_CYCLE_1)
	s_lshl_b64 s[26:27], s[2:3], 3
	s_wait_kmcnt 0x0
	v_cmp_gt_i64_e64 s24, s[6:7], 0
	s_add_nc_u64 s[0:1], s[20:21], s[26:27]
	s_and_b32 vcc_lo, exec_lo, s24
	s_mov_b64 s[24:25], 0
	s_cbranch_vccnz .LBB33_2
; %bb.1:
	s_sub_nc_u64 s[20:21], 1, s[8:9]
	s_delay_alu instid0(SALU_CYCLE_1)
	s_mul_u64 s[24:25], s[6:7], s[20:21]
.LBB33_2:
	s_load_b64 s[20:21], s[0:1], 0x0
	v_dual_mov_b32 v1, 0 :: v_dual_lshlrev_b32 v8, 2, v0
	s_delay_alu instid0(VALU_DEP_1)
	v_cmp_gt_i64_e64 s0, s[8:9], v[0:1]
	s_and_saveexec_b32 s28, s0
	s_cbranch_execz .LBB33_5
; %bb.3:
	s_add_nc_u64 s[12:13], s[12:13], s[26:27]
	v_mad_co_u64_u32 v[2:3], null, s6, v0, 0
	s_load_b64 s[12:13], s[12:13], 0x0
	s_lshl_b64 s[14:15], s[14:15], 2
	s_lshl_b64 s[24:25], s[24:25], 2
	v_lshlrev_b32_e32 v6, 2, v0
	v_mad_co_u64_u32 v[3:4], null, s7, v0, v[3:4]
	v_dual_mov_b32 v5, v1 :: v_dual_mov_b32 v4, v0
	s_lshl_b64 s[6:7], s[6:7], 11
	s_delay_alu instid0(VALU_DEP_2) | instskip(SKIP_2) | instid1(SALU_CYCLE_1)
	v_lshlrev_b64_e32 v[2:3], 2, v[2:3]
	s_wait_kmcnt 0x0
	s_add_nc_u64 s[12:13], s[12:13], s[14:15]
	s_add_nc_u64 s[12:13], s[12:13], s[24:25]
	s_delay_alu instid0(VALU_DEP_1) | instid1(SALU_CYCLE_1)
	v_add_co_u32 v2, vcc_lo, s12, v2
	s_delay_alu instid0(VALU_DEP_1)
	v_add_co_ci_u32_e64 v3, null, s13, v3, vcc_lo
	s_mov_b32 s12, 0
.LBB33_4:                               ; =>This Inner Loop Header: Depth=1
	flat_load_b32 v7, v[2:3]
	v_add_co_u32 v4, vcc_lo, 0x200, v4
	s_wait_alu 0xfffd
	v_add_co_ci_u32_e64 v5, null, 0, v5, vcc_lo
	s_wait_alu 0xfffe
	v_add_co_u32 v2, vcc_lo, v2, s6
	s_wait_alu 0xfffd
	v_add_co_ci_u32_e64 v3, null, s7, v3, vcc_lo
	v_cmp_le_i64_e64 s1, s[8:9], v[4:5]
	s_or_b32 s12, s1, s12
	s_wait_loadcnt_dscnt 0x0
	ds_store_b32 v6, v7
	v_add_nc_u32_e32 v6, 0x800, v6
	s_wait_alu 0xfffe
	s_and_not1_b32 exec_lo, exec_lo, s12
	s_cbranch_execnz .LBB33_4
.LBB33_5:
	s_or_b32 exec_lo, exec_lo, s28
	s_mov_b32 s6, ttmp7
	s_mov_b32 s7, 0
	s_wait_dscnt 0x0
	s_wait_alu 0xfffe
	v_cmp_le_i64_e64 s1, s[10:11], s[6:7]
	s_barrier_signal -1
	s_barrier_wait -1
	global_inv scope:SCOPE_SE
	s_and_b32 vcc_lo, exec_lo, s1
	s_wait_alu 0xfffe
	s_cbranch_vccnz .LBB33_25
; %bb.6:
	s_mul_u64 s[2:3], s[18:19], s[2:3]
	v_dual_mov_b32 v13, 0x2004 :: v_dual_and_b32 v2, 31, v0
	s_lshl_b64 s[12:13], s[2:3], 2
	s_cmp_gt_i32 s8, 1
	s_mul_u64 s[14:15], s[4:5], s[6:7]
	s_cselect_b32 s18, -1, 0
	s_lshl_b64 s[14:15], s[14:15], 2
	s_lshl_b64 s[22:23], s[22:23], 2
	v_cmp_eq_u32_e64 s2, 0, v2
	v_dual_mov_b32 v15, 0x2014 :: v_dual_lshlrev_b32 v2, 2, v0
	s_add_nc_u64 s[14:15], s[14:15], s[22:23]
	v_mbcnt_lo_u32_b32 v11, -1, 0
	s_wait_kmcnt 0x0
	s_add_nc_u64 s[14:15], s[20:21], s[14:15]
	v_cmp_gt_i32_e64 s1, s8, v0
	v_add_co_u32 v2, s14, s14, v2
	v_lshrrev_b32_e32 v9, 3, v0
	v_cmp_eq_u32_e64 s3, 0, v0
	v_dual_mov_b32 v10, 0 :: v_dual_mov_b32 v17, 0x2024
	s_wait_alu 0xf1ff
	v_add_co_ci_u32_e64 v3, null, s15, 0, s14
	v_lshl_or_b32 v12, v11, 2, 64
	v_mov_b32_e32 v14, 0x200c
	v_mov_b32_e32 v16, 0x201c
	;; [unrolled: 1-line block ×4, first 2 shown]
	s_wait_alu 0xfffe
	s_add_nc_u64 s[12:13], s[16:17], s[12:13]
	s_lshl_b64 s[14:15], s[4:5], 8
	s_branch .LBB33_8
.LBB33_7:                               ;   in Loop: Header=BB33_8 Depth=1
	s_wait_alu 0xfffe
	s_or_b32 exec_lo, exec_lo, s5
	s_add_nc_u64 s[6:7], s[6:7], 64
	v_add_co_u32 v2, vcc_lo, v2, s14
	s_wait_alu 0xfffe
	v_cmp_ge_i64_e64 s4, s[6:7], s[10:11]
	s_wait_alu 0xfffd
	v_add_co_ci_u32_e64 v3, null, s15, v3, vcc_lo
	s_and_b32 vcc_lo, exec_lo, s4
	s_wait_alu 0xfffe
	s_cbranch_vccnz .LBB33_25
.LBB33_8:                               ; =>This Loop Header: Depth=1
                                        ;     Child Loop BB33_10 Depth 2
                                        ;     Child Loop BB33_24 Depth 2
	v_mov_b32_e32 v6, 0
	s_and_saveexec_b32 s5, s1
	s_cbranch_execz .LBB33_12
; %bb.9:                                ;   in Loop: Header=BB33_8 Depth=1
	v_dual_mov_b32 v6, 0 :: v_dual_mov_b32 v5, v3
	v_dual_mov_b32 v4, v2 :: v_dual_mov_b32 v7, v8
	v_mov_b32_e32 v20, v0
	s_mov_b32 s16, 0
.LBB33_10:                              ;   Parent Loop BB33_8 Depth=1
                                        ; =>  This Inner Loop Header: Depth=2
	flat_load_b32 v21, v[4:5]
	ds_load_b32 v22, v7
	v_add_nc_u32_e32 v20, 0x200, v20
	v_add_co_u32 v4, vcc_lo, 0x800, v4
	v_add_nc_u32_e32 v7, 0x800, v7
	s_wait_alu 0xfffd
	v_add_co_ci_u32_e64 v5, null, 0, v5, vcc_lo
	v_cmp_le_i32_e64 s4, s8, v20
	s_or_b32 s16, s4, s16
	s_wait_loadcnt_dscnt 0x0
	v_fmac_f32_e32 v6, v22, v21
	s_and_not1_b32 exec_lo, exec_lo, s16
	s_cbranch_execnz .LBB33_10
; %bb.11:                               ;   in Loop: Header=BB33_8 Depth=1
	s_or_b32 exec_lo, exec_lo, s16
.LBB33_12:                              ;   in Loop: Header=BB33_8 Depth=1
	s_wait_alu 0xfffe
	s_or_b32 exec_lo, exec_lo, s5
	s_delay_alu instid0(SALU_CYCLE_1)
	s_and_b32 vcc_lo, exec_lo, s18
	s_wait_alu 0xfffe
	s_cbranch_vccz .LBB33_19
; %bb.13:                               ;   in Loop: Header=BB33_8 Depth=1
	v_cmp_ne_u32_e32 vcc_lo, 31, v11
	s_wait_alu 0xfffd
	v_add_co_ci_u32_e64 v4, null, 0, v11, vcc_lo
	v_cmp_gt_u32_e32 vcc_lo, 30, v11
	s_delay_alu instid0(VALU_DEP_2)
	v_lshlrev_b32_e32 v4, 2, v4
	s_wait_alu 0xfffd
	v_cndmask_b32_e64 v5, 0, 2, vcc_lo
	v_cmp_gt_u32_e32 vcc_lo, 28, v11
	ds_bpermute_b32 v4, v4, v6
	v_add_lshl_u32 v5, v5, v11, 2
	s_wait_alu 0xfffd
	v_cndmask_b32_e64 v7, 0, 4, vcc_lo
	v_cmp_gt_u32_e32 vcc_lo, 24, v11
	s_delay_alu instid0(VALU_DEP_2)
	v_add_lshl_u32 v7, v7, v11, 2
	s_wait_dscnt 0x0
	v_add_f32_e32 v4, v6, v4
	ds_bpermute_b32 v5, v5, v4
	s_wait_dscnt 0x0
	v_add_f32_e32 v4, v4, v5
	ds_bpermute_b32 v5, v7, v4
	s_wait_alu 0xfffd
	v_cndmask_b32_e64 v7, 0, 8, vcc_lo
	s_wait_dscnt 0x0
	v_add_f32_e32 v4, v4, v5
	s_delay_alu instid0(VALU_DEP_2)
	v_add_lshl_u32 v5, v7, v11, 2
	ds_bpermute_b32 v5, v5, v4
	s_wait_dscnt 0x0
	v_add_f32_e32 v4, v4, v5
	ds_bpermute_b32 v5, v12, v4
	s_wait_dscnt 0x0
	v_add_f32_e32 v4, v4, v5
	s_and_saveexec_b32 s4, s2
; %bb.14:                               ;   in Loop: Header=BB33_8 Depth=1
	ds_store_b32 v9, v4 offset:8192
; %bb.15:                               ;   in Loop: Header=BB33_8 Depth=1
	s_wait_alu 0xfffe
	s_or_b32 exec_lo, exec_lo, s4
	s_mov_b32 s5, 0
	s_mov_b32 s4, 0
	s_wait_loadcnt_dscnt 0x0
	s_barrier_signal -1
	s_barrier_wait -1
	global_inv scope:SCOPE_SE
                                        ; implicit-def: $vgpr5
	s_and_saveexec_b32 s16, s3
	s_delay_alu instid0(SALU_CYCLE_1)
	s_xor_b32 s16, exec_lo, s16
	s_cbranch_execz .LBB33_17
; %bb.16:                               ;   in Loop: Header=BB33_8 Depth=1
	ds_load_2addr_b32 v[20:21], v13 offset1:1
	ds_load_2addr_b32 v[22:23], v14 offset1:1
	;; [unrolled: 1-line block ×4, first 2 shown]
	s_mov_b32 s4, exec_lo
	s_wait_dscnt 0x3
	v_add_f32_e32 v4, v4, v20
	s_delay_alu instid0(VALU_DEP_1) | instskip(SKIP_3) | instid1(VALU_DEP_1)
	v_add_f32_e32 v4, v4, v21
	ds_load_2addr_b32 v[20:21], v18 offset1:1
	s_wait_dscnt 0x3
	v_add_f32_e32 v4, v4, v22
	v_add_f32_e32 v4, v4, v23
	s_wait_dscnt 0x2
	s_delay_alu instid0(VALU_DEP_1)
	v_add_f32_e32 v7, v4, v24
	ds_load_2addr_b32 v[4:5], v17 offset1:1
	ds_load_2addr_b32 v[22:23], v19 offset1:1
	ds_load_b32 v24, v10 offset:8252
	v_add_f32_e32 v7, v7, v25
	s_wait_dscnt 0x4
	s_delay_alu instid0(VALU_DEP_1) | instskip(NEXT) | instid1(VALU_DEP_1)
	v_add_f32_e32 v7, v7, v26
	v_add_f32_e32 v7, v7, v27
	s_wait_dscnt 0x2
	s_delay_alu instid0(VALU_DEP_1) | instskip(NEXT) | instid1(VALU_DEP_1)
	v_add_f32_e32 v4, v7, v4
	v_add_f32_e32 v4, v4, v5
	s_delay_alu instid0(VALU_DEP_1) | instskip(NEXT) | instid1(VALU_DEP_1)
	v_add_f32_e32 v4, v4, v20
	v_add_f32_e32 v4, v4, v21
	s_wait_dscnt 0x1
	s_delay_alu instid0(VALU_DEP_1) | instskip(NEXT) | instid1(VALU_DEP_1)
	v_add_f32_e32 v4, v4, v22
	v_add_f32_e32 v4, v4, v23
	s_wait_dscnt 0x0
	s_delay_alu instid0(VALU_DEP_1)
	v_add_f32_e32 v5, v4, v24
.LBB33_17:                              ;   in Loop: Header=BB33_8 Depth=1
	s_or_b32 exec_lo, exec_lo, s16
	s_wait_alu 0xfffe
	s_and_b32 vcc_lo, exec_lo, s5
	s_wait_alu 0xfffe
	s_cbranch_vccnz .LBB33_20
.LBB33_18:                              ;   in Loop: Header=BB33_8 Depth=1
	v_mov_b32_e32 v6, v5
	s_wait_alu 0xfffe
	s_and_saveexec_b32 s5, s4
	s_cbranch_execnz .LBB33_21
	s_branch .LBB33_22
.LBB33_19:                              ;   in Loop: Header=BB33_8 Depth=1
	s_mov_b32 s4, 0
                                        ; implicit-def: $vgpr5
	s_cbranch_execz .LBB33_18
.LBB33_20:                              ;   in Loop: Header=BB33_8 Depth=1
	s_wait_alu 0xfffe
	s_and_not1_b32 s4, s4, exec_lo
	s_and_b32 s5, s3, exec_lo
	s_wait_alu 0xfffe
	s_or_b32 s4, s4, s5
	s_wait_alu 0xfffe
	s_and_saveexec_b32 s5, s4
.LBB33_21:                              ;   in Loop: Header=BB33_8 Depth=1
	ds_store_b32 v10, v6 offset:8192
.LBB33_22:                              ;   in Loop: Header=BB33_8 Depth=1
	s_wait_alu 0xfffe
	s_or_b32 exec_lo, exec_lo, s5
	s_wait_loadcnt_dscnt 0x0
	s_barrier_signal -1
	s_barrier_wait -1
	global_inv scope:SCOPE_SE
	s_and_saveexec_b32 s5, s0
	s_cbranch_execz .LBB33_7
; %bb.23:                               ;   in Loop: Header=BB33_8 Depth=1
	global_load_b32 v4, v10, s[12:13]
	ds_load_b32 v6, v10 offset:8192
	s_mov_b32 s16, 0
	s_wait_loadcnt 0x0
	v_xor_b32_e32 v7, 0x80000000, v4
	v_dual_mov_b32 v5, v3 :: v_dual_mov_b32 v4, v2
	s_wait_dscnt 0x0
	s_delay_alu instid0(VALU_DEP_2)
	v_dual_mov_b32 v20, v8 :: v_dual_mul_f32 v21, v6, v7
	v_dual_mov_b32 v7, v1 :: v_dual_mov_b32 v6, v0
.LBB33_24:                              ;   Parent Loop BB33_8 Depth=1
                                        ; =>  This Inner Loop Header: Depth=2
	flat_load_b32 v22, v[4:5]
	ds_load_b32 v23, v20
	v_add_co_u32 v6, vcc_lo, 0x200, v6
	s_wait_alu 0xfffd
	v_add_co_ci_u32_e64 v7, null, 0, v7, vcc_lo
	v_add_nc_u32_e32 v20, 0x800, v20
	s_delay_alu instid0(VALU_DEP_2)
	v_cmp_le_i64_e32 vcc_lo, s[8:9], v[6:7]
	s_or_b32 s16, vcc_lo, s16
	s_wait_loadcnt_dscnt 0x0
	v_fmac_f32_e32 v22, v21, v23
	flat_store_b32 v[4:5], v22
	v_add_co_u32 v4, s4, 0x800, v4
	s_wait_alu 0xf1ff
	v_add_co_ci_u32_e64 v5, null, 0, v5, s4
	s_and_not1_b32 exec_lo, exec_lo, s16
	s_cbranch_execnz .LBB33_24
	s_branch .LBB33_7
.LBB33_25:
	s_endpgm
	.section	.rodata,"a",@progbits
	.p2align	6, 0x0
	.amdhsa_kernel _ZN9rocsolver6v33100L22larf_left_kernel_smallILi512EflPKPfEEvT1_S5_T2_lS5_lPKT0_lS6_lS5_l
		.amdhsa_group_segment_fixed_size 10240
		.amdhsa_private_segment_fixed_size 0
		.amdhsa_kernarg_size 96
		.amdhsa_user_sgpr_count 2
		.amdhsa_user_sgpr_dispatch_ptr 0
		.amdhsa_user_sgpr_queue_ptr 0
		.amdhsa_user_sgpr_kernarg_segment_ptr 1
		.amdhsa_user_sgpr_dispatch_id 0
		.amdhsa_user_sgpr_private_segment_size 0
		.amdhsa_wavefront_size32 1
		.amdhsa_uses_dynamic_stack 0
		.amdhsa_enable_private_segment 0
		.amdhsa_system_sgpr_workgroup_id_x 1
		.amdhsa_system_sgpr_workgroup_id_y 1
		.amdhsa_system_sgpr_workgroup_id_z 0
		.amdhsa_system_sgpr_workgroup_info 0
		.amdhsa_system_vgpr_workitem_id 0
		.amdhsa_next_free_vgpr 28
		.amdhsa_next_free_sgpr 29
		.amdhsa_reserve_vcc 1
		.amdhsa_float_round_mode_32 0
		.amdhsa_float_round_mode_16_64 0
		.amdhsa_float_denorm_mode_32 3
		.amdhsa_float_denorm_mode_16_64 3
		.amdhsa_fp16_overflow 0
		.amdhsa_workgroup_processor_mode 1
		.amdhsa_memory_ordered 1
		.amdhsa_forward_progress 1
		.amdhsa_inst_pref_size 13
		.amdhsa_round_robin_scheduling 0
		.amdhsa_exception_fp_ieee_invalid_op 0
		.amdhsa_exception_fp_denorm_src 0
		.amdhsa_exception_fp_ieee_div_zero 0
		.amdhsa_exception_fp_ieee_overflow 0
		.amdhsa_exception_fp_ieee_underflow 0
		.amdhsa_exception_fp_ieee_inexact 0
		.amdhsa_exception_int_div_zero 0
	.end_amdhsa_kernel
	.section	.text._ZN9rocsolver6v33100L22larf_left_kernel_smallILi512EflPKPfEEvT1_S5_T2_lS5_lPKT0_lS6_lS5_l,"axG",@progbits,_ZN9rocsolver6v33100L22larf_left_kernel_smallILi512EflPKPfEEvT1_S5_T2_lS5_lPKT0_lS6_lS5_l,comdat
.Lfunc_end33:
	.size	_ZN9rocsolver6v33100L22larf_left_kernel_smallILi512EflPKPfEEvT1_S5_T2_lS5_lPKT0_lS6_lS5_l, .Lfunc_end33-_ZN9rocsolver6v33100L22larf_left_kernel_smallILi512EflPKPfEEvT1_S5_T2_lS5_lPKT0_lS6_lS5_l
                                        ; -- End function
	.set _ZN9rocsolver6v33100L22larf_left_kernel_smallILi512EflPKPfEEvT1_S5_T2_lS5_lPKT0_lS6_lS5_l.num_vgpr, 28
	.set _ZN9rocsolver6v33100L22larf_left_kernel_smallILi512EflPKPfEEvT1_S5_T2_lS5_lPKT0_lS6_lS5_l.num_agpr, 0
	.set _ZN9rocsolver6v33100L22larf_left_kernel_smallILi512EflPKPfEEvT1_S5_T2_lS5_lPKT0_lS6_lS5_l.numbered_sgpr, 29
	.set _ZN9rocsolver6v33100L22larf_left_kernel_smallILi512EflPKPfEEvT1_S5_T2_lS5_lPKT0_lS6_lS5_l.num_named_barrier, 0
	.set _ZN9rocsolver6v33100L22larf_left_kernel_smallILi512EflPKPfEEvT1_S5_T2_lS5_lPKT0_lS6_lS5_l.private_seg_size, 0
	.set _ZN9rocsolver6v33100L22larf_left_kernel_smallILi512EflPKPfEEvT1_S5_T2_lS5_lPKT0_lS6_lS5_l.uses_vcc, 1
	.set _ZN9rocsolver6v33100L22larf_left_kernel_smallILi512EflPKPfEEvT1_S5_T2_lS5_lPKT0_lS6_lS5_l.uses_flat_scratch, 0
	.set _ZN9rocsolver6v33100L22larf_left_kernel_smallILi512EflPKPfEEvT1_S5_T2_lS5_lPKT0_lS6_lS5_l.has_dyn_sized_stack, 0
	.set _ZN9rocsolver6v33100L22larf_left_kernel_smallILi512EflPKPfEEvT1_S5_T2_lS5_lPKT0_lS6_lS5_l.has_recursion, 0
	.set _ZN9rocsolver6v33100L22larf_left_kernel_smallILi512EflPKPfEEvT1_S5_T2_lS5_lPKT0_lS6_lS5_l.has_indirect_call, 0
	.section	.AMDGPU.csdata,"",@progbits
; Kernel info:
; codeLenInByte = 1540
; TotalNumSgprs: 31
; NumVgprs: 28
; ScratchSize: 0
; MemoryBound: 0
; FloatMode: 240
; IeeeMode: 1
; LDSByteSize: 10240 bytes/workgroup (compile time only)
; SGPRBlocks: 0
; VGPRBlocks: 3
; NumSGPRsForWavesPerEU: 31
; NumVGPRsForWavesPerEU: 28
; Occupancy: 16
; WaveLimiterHint : 0
; COMPUTE_PGM_RSRC2:SCRATCH_EN: 0
; COMPUTE_PGM_RSRC2:USER_SGPR: 2
; COMPUTE_PGM_RSRC2:TRAP_HANDLER: 0
; COMPUTE_PGM_RSRC2:TGID_X_EN: 1
; COMPUTE_PGM_RSRC2:TGID_Y_EN: 1
; COMPUTE_PGM_RSRC2:TGID_Z_EN: 0
; COMPUTE_PGM_RSRC2:TIDIG_COMP_CNT: 0
	.section	.text._ZN9rocsolver6v33100L22larf_left_kernel_smallILi1024EflPKPfEEvT1_S5_T2_lS5_lPKT0_lS6_lS5_l,"axG",@progbits,_ZN9rocsolver6v33100L22larf_left_kernel_smallILi1024EflPKPfEEvT1_S5_T2_lS5_lPKT0_lS6_lS5_l,comdat
	.globl	_ZN9rocsolver6v33100L22larf_left_kernel_smallILi1024EflPKPfEEvT1_S5_T2_lS5_lPKT0_lS6_lS5_l ; -- Begin function _ZN9rocsolver6v33100L22larf_left_kernel_smallILi1024EflPKPfEEvT1_S5_T2_lS5_lPKT0_lS6_lS5_l
	.p2align	8
	.type	_ZN9rocsolver6v33100L22larf_left_kernel_smallILi1024EflPKPfEEvT1_S5_T2_lS5_lPKT0_lS6_lS5_l,@function
_ZN9rocsolver6v33100L22larf_left_kernel_smallILi1024EflPKPfEEvT1_S5_T2_lS5_lPKT0_lS6_lS5_l: ; @_ZN9rocsolver6v33100L22larf_left_kernel_smallILi1024EflPKPfEEvT1_S5_T2_lS5_lPKT0_lS6_lS5_l
; %bb.0:
	s_clause 0x3
	s_load_b64 s[6:7], s[0:1], 0x20
	s_load_b256 s[16:23], s[0:1], 0x30
	s_load_b256 s[8:15], s[0:1], 0x0
	s_load_b64 s[4:5], s[0:1], 0x50
	s_mov_b32 s2, ttmp9
	s_mov_b32 s3, 0
	s_delay_alu instid0(SALU_CYCLE_1)
	s_lshl_b64 s[26:27], s[2:3], 3
	s_wait_kmcnt 0x0
	v_cmp_gt_i64_e64 s24, s[6:7], 0
	s_add_nc_u64 s[0:1], s[20:21], s[26:27]
	s_and_b32 vcc_lo, exec_lo, s24
	s_mov_b64 s[24:25], 0
	s_cbranch_vccnz .LBB34_2
; %bb.1:
	s_sub_nc_u64 s[20:21], 1, s[8:9]
	s_delay_alu instid0(SALU_CYCLE_1)
	s_mul_u64 s[24:25], s[6:7], s[20:21]
.LBB34_2:
	s_load_b64 s[20:21], s[0:1], 0x0
	v_dual_mov_b32 v1, 0 :: v_dual_lshlrev_b32 v8, 2, v0
	s_delay_alu instid0(VALU_DEP_1)
	v_cmp_gt_i64_e64 s0, s[8:9], v[0:1]
	s_and_saveexec_b32 s28, s0
	s_cbranch_execz .LBB34_5
; %bb.3:
	s_add_nc_u64 s[12:13], s[12:13], s[26:27]
	v_mad_co_u64_u32 v[2:3], null, s6, v0, 0
	s_load_b64 s[12:13], s[12:13], 0x0
	s_lshl_b64 s[14:15], s[14:15], 2
	s_lshl_b64 s[24:25], s[24:25], 2
	v_lshlrev_b32_e32 v6, 2, v0
	v_mad_co_u64_u32 v[3:4], null, s7, v0, v[3:4]
	v_dual_mov_b32 v5, v1 :: v_dual_mov_b32 v4, v0
	s_lshl_b64 s[6:7], s[6:7], 12
	s_delay_alu instid0(VALU_DEP_2) | instskip(SKIP_2) | instid1(SALU_CYCLE_1)
	v_lshlrev_b64_e32 v[2:3], 2, v[2:3]
	s_wait_kmcnt 0x0
	s_add_nc_u64 s[12:13], s[12:13], s[14:15]
	s_add_nc_u64 s[12:13], s[12:13], s[24:25]
	s_delay_alu instid0(VALU_DEP_1) | instid1(SALU_CYCLE_1)
	v_add_co_u32 v2, vcc_lo, s12, v2
	s_delay_alu instid0(VALU_DEP_1)
	v_add_co_ci_u32_e64 v3, null, s13, v3, vcc_lo
	s_mov_b32 s12, 0
.LBB34_4:                               ; =>This Inner Loop Header: Depth=1
	flat_load_b32 v7, v[2:3]
	v_add_co_u32 v4, vcc_lo, 0x400, v4
	s_wait_alu 0xfffd
	v_add_co_ci_u32_e64 v5, null, 0, v5, vcc_lo
	s_wait_alu 0xfffe
	v_add_co_u32 v2, vcc_lo, v2, s6
	s_wait_alu 0xfffd
	v_add_co_ci_u32_e64 v3, null, s7, v3, vcc_lo
	v_cmp_le_i64_e64 s1, s[8:9], v[4:5]
	s_or_b32 s12, s1, s12
	s_wait_loadcnt_dscnt 0x0
	ds_store_b32 v6, v7
	v_add_nc_u32_e32 v6, 0x1000, v6
	s_wait_alu 0xfffe
	s_and_not1_b32 exec_lo, exec_lo, s12
	s_cbranch_execnz .LBB34_4
.LBB34_5:
	s_or_b32 exec_lo, exec_lo, s28
	s_mov_b32 s6, ttmp7
	s_mov_b32 s7, 0
	s_wait_dscnt 0x0
	s_wait_alu 0xfffe
	v_cmp_le_i64_e64 s1, s[10:11], s[6:7]
	s_barrier_signal -1
	s_barrier_wait -1
	global_inv scope:SCOPE_SE
	s_and_b32 vcc_lo, exec_lo, s1
	s_wait_alu 0xfffe
	s_cbranch_vccnz .LBB34_25
; %bb.6:
	s_mul_u64 s[2:3], s[18:19], s[2:3]
	v_dual_mov_b32 v13, 0x2004 :: v_dual_and_b32 v2, 31, v0
	s_lshl_b64 s[12:13], s[2:3], 2
	s_cmp_gt_i32 s8, 1
	s_mul_u64 s[14:15], s[4:5], s[6:7]
	s_cselect_b32 s18, -1, 0
	s_lshl_b64 s[14:15], s[14:15], 2
	s_lshl_b64 s[22:23], s[22:23], 2
	v_cmp_eq_u32_e64 s2, 0, v2
	v_dual_mov_b32 v15, 0x2014 :: v_dual_lshlrev_b32 v2, 2, v0
	s_add_nc_u64 s[14:15], s[14:15], s[22:23]
	v_mbcnt_lo_u32_b32 v11, -1, 0
	s_wait_kmcnt 0x0
	s_add_nc_u64 s[14:15], s[20:21], s[14:15]
	v_cmp_gt_i32_e64 s1, s8, v0
	v_add_co_u32 v2, s14, s14, v2
	v_lshrrev_b32_e32 v9, 3, v0
	v_cmp_eq_u32_e64 s3, 0, v0
	v_dual_mov_b32 v10, 0 :: v_dual_mov_b32 v17, 0x2024
	s_wait_alu 0xf1ff
	v_add_co_ci_u32_e64 v3, null, s15, 0, s14
	v_lshl_or_b32 v12, v11, 2, 64
	v_mov_b32_e32 v14, 0x200c
	v_mov_b32_e32 v16, 0x201c
	;; [unrolled: 1-line block ×12, first 2 shown]
	s_wait_alu 0xfffe
	s_add_nc_u64 s[12:13], s[16:17], s[12:13]
	s_lshl_b64 s[14:15], s[4:5], 8
	s_branch .LBB34_8
.LBB34_7:                               ;   in Loop: Header=BB34_8 Depth=1
	s_wait_alu 0xfffe
	s_or_b32 exec_lo, exec_lo, s5
	s_add_nc_u64 s[6:7], s[6:7], 64
	v_add_co_u32 v2, vcc_lo, v2, s14
	s_wait_alu 0xfffe
	v_cmp_ge_i64_e64 s4, s[6:7], s[10:11]
	s_wait_alu 0xfffd
	v_add_co_ci_u32_e64 v3, null, s15, v3, vcc_lo
	s_and_b32 vcc_lo, exec_lo, s4
	s_wait_alu 0xfffe
	s_cbranch_vccnz .LBB34_25
.LBB34_8:                               ; =>This Loop Header: Depth=1
                                        ;     Child Loop BB34_10 Depth 2
                                        ;     Child Loop BB34_24 Depth 2
	v_mov_b32_e32 v6, 0
	s_and_saveexec_b32 s5, s1
	s_cbranch_execz .LBB34_12
; %bb.9:                                ;   in Loop: Header=BB34_8 Depth=1
	v_dual_mov_b32 v6, 0 :: v_dual_mov_b32 v5, v3
	v_dual_mov_b32 v4, v2 :: v_dual_mov_b32 v7, v8
	v_mov_b32_e32 v28, v0
	s_mov_b32 s16, 0
.LBB34_10:                              ;   Parent Loop BB34_8 Depth=1
                                        ; =>  This Inner Loop Header: Depth=2
	flat_load_b32 v29, v[4:5]
	ds_load_b32 v30, v7
	v_add_nc_u32_e32 v28, 0x400, v28
	v_add_co_u32 v4, vcc_lo, 0x1000, v4
	v_add_nc_u32_e32 v7, 0x1000, v7
	s_wait_alu 0xfffd
	v_add_co_ci_u32_e64 v5, null, 0, v5, vcc_lo
	v_cmp_le_i32_e64 s4, s8, v28
	s_or_b32 s16, s4, s16
	s_wait_loadcnt_dscnt 0x0
	v_fmac_f32_e32 v6, v30, v29
	s_and_not1_b32 exec_lo, exec_lo, s16
	s_cbranch_execnz .LBB34_10
; %bb.11:                               ;   in Loop: Header=BB34_8 Depth=1
	s_or_b32 exec_lo, exec_lo, s16
.LBB34_12:                              ;   in Loop: Header=BB34_8 Depth=1
	s_wait_alu 0xfffe
	s_or_b32 exec_lo, exec_lo, s5
	s_delay_alu instid0(SALU_CYCLE_1)
	s_and_b32 vcc_lo, exec_lo, s18
	s_wait_alu 0xfffe
	s_cbranch_vccz .LBB34_19
; %bb.13:                               ;   in Loop: Header=BB34_8 Depth=1
	v_cmp_ne_u32_e32 vcc_lo, 31, v11
	s_wait_alu 0xfffd
	v_add_co_ci_u32_e64 v4, null, 0, v11, vcc_lo
	v_cmp_gt_u32_e32 vcc_lo, 30, v11
	s_delay_alu instid0(VALU_DEP_2)
	v_lshlrev_b32_e32 v4, 2, v4
	s_wait_alu 0xfffd
	v_cndmask_b32_e64 v5, 0, 2, vcc_lo
	v_cmp_gt_u32_e32 vcc_lo, 28, v11
	ds_bpermute_b32 v4, v4, v6
	v_add_lshl_u32 v5, v5, v11, 2
	s_wait_alu 0xfffd
	v_cndmask_b32_e64 v7, 0, 4, vcc_lo
	v_cmp_gt_u32_e32 vcc_lo, 24, v11
	s_delay_alu instid0(VALU_DEP_2)
	v_add_lshl_u32 v7, v7, v11, 2
	s_wait_dscnt 0x0
	v_add_f32_e32 v4, v6, v4
	ds_bpermute_b32 v5, v5, v4
	s_wait_dscnt 0x0
	v_add_f32_e32 v4, v4, v5
	ds_bpermute_b32 v5, v7, v4
	s_wait_alu 0xfffd
	v_cndmask_b32_e64 v7, 0, 8, vcc_lo
	s_wait_dscnt 0x0
	v_add_f32_e32 v4, v4, v5
	s_delay_alu instid0(VALU_DEP_2)
	v_add_lshl_u32 v5, v7, v11, 2
	ds_bpermute_b32 v5, v5, v4
	s_wait_dscnt 0x0
	v_add_f32_e32 v4, v4, v5
	ds_bpermute_b32 v5, v12, v4
	s_wait_dscnt 0x0
	v_add_f32_e32 v4, v4, v5
	s_and_saveexec_b32 s4, s2
; %bb.14:                               ;   in Loop: Header=BB34_8 Depth=1
	ds_store_b32 v9, v4 offset:8192
; %bb.15:                               ;   in Loop: Header=BB34_8 Depth=1
	s_wait_alu 0xfffe
	s_or_b32 exec_lo, exec_lo, s4
	s_mov_b32 s5, 0
	s_mov_b32 s4, 0
	s_wait_loadcnt_dscnt 0x0
	s_barrier_signal -1
	s_barrier_wait -1
	global_inv scope:SCOPE_SE
                                        ; implicit-def: $vgpr5
	s_and_saveexec_b32 s16, s3
	s_delay_alu instid0(SALU_CYCLE_1)
	s_xor_b32 s16, exec_lo, s16
	s_cbranch_execz .LBB34_17
; %bb.16:                               ;   in Loop: Header=BB34_8 Depth=1
	ds_load_2addr_b32 v[28:29], v13 offset1:1
	ds_load_2addr_b32 v[30:31], v14 offset1:1
	ds_load_2addr_b32 v[32:33], v15 offset1:1
	ds_load_2addr_b32 v[34:35], v16 offset1:1
	s_mov_b32 s4, exec_lo
	s_wait_dscnt 0x3
	v_add_f32_e32 v4, v4, v28
	s_delay_alu instid0(VALU_DEP_1) | instskip(SKIP_3) | instid1(VALU_DEP_1)
	v_add_f32_e32 v4, v4, v29
	ds_load_2addr_b32 v[28:29], v18 offset1:1
	s_wait_dscnt 0x3
	v_add_f32_e32 v4, v4, v30
	v_add_f32_e32 v7, v4, v31
	ds_load_2addr_b32 v[4:5], v17 offset1:1
	s_wait_dscnt 0x3
	v_add_f32_e32 v7, v7, v32
	s_delay_alu instid0(VALU_DEP_1) | instskip(SKIP_4) | instid1(VALU_DEP_1)
	v_add_f32_e32 v7, v7, v33
	ds_load_2addr_b32 v[30:31], v19 offset1:1
	ds_load_2addr_b32 v[32:33], v20 offset1:1
	s_wait_dscnt 0x4
	v_add_f32_e32 v7, v7, v34
	v_add_f32_e32 v7, v7, v35
	s_wait_dscnt 0x2
	s_delay_alu instid0(VALU_DEP_1) | instskip(NEXT) | instid1(VALU_DEP_1)
	v_add_f32_e32 v4, v7, v4
	v_add_f32_e32 v4, v4, v5
	s_delay_alu instid0(VALU_DEP_1) | instskip(NEXT) | instid1(VALU_DEP_1)
	v_add_f32_e32 v4, v4, v28
	v_add_f32_e32 v7, v4, v29
	ds_load_2addr_b32 v[4:5], v21 offset1:1
	ds_load_2addr_b32 v[28:29], v22 offset1:1
	s_wait_dscnt 0x3
	v_add_f32_e32 v7, v7, v30
	s_delay_alu instid0(VALU_DEP_1) | instskip(SKIP_1) | instid1(VALU_DEP_1)
	v_add_f32_e32 v7, v7, v31
	s_wait_dscnt 0x2
	v_add_f32_e32 v7, v7, v32
	s_delay_alu instid0(VALU_DEP_1) | instskip(SKIP_4) | instid1(VALU_DEP_1)
	v_add_f32_e32 v7, v7, v33
	ds_load_2addr_b32 v[30:31], v23 offset1:1
	ds_load_2addr_b32 v[32:33], v24 offset1:1
	s_wait_dscnt 0x3
	v_add_f32_e32 v4, v7, v4
	v_add_f32_e32 v4, v4, v5
	s_wait_dscnt 0x2
	s_delay_alu instid0(VALU_DEP_1) | instskip(NEXT) | instid1(VALU_DEP_1)
	v_add_f32_e32 v4, v4, v28
	v_add_f32_e32 v4, v4, v29
	ds_load_2addr_b32 v[28:29], v26 offset1:1
	s_wait_dscnt 0x2
	v_add_f32_e32 v7, v4, v30
	ds_load_2addr_b32 v[4:5], v25 offset1:1
	v_add_f32_e32 v7, v7, v31
	s_wait_dscnt 0x2
	s_delay_alu instid0(VALU_DEP_1) | instskip(SKIP_4) | instid1(VALU_DEP_1)
	v_add_f32_e32 v7, v7, v32
	ds_load_2addr_b32 v[30:31], v27 offset1:1
	ds_load_b32 v32, v10 offset:8316
	v_add_f32_e32 v7, v7, v33
	s_wait_dscnt 0x2
	v_add_f32_e32 v4, v7, v4
	s_delay_alu instid0(VALU_DEP_1) | instskip(NEXT) | instid1(VALU_DEP_1)
	v_add_f32_e32 v4, v4, v5
	v_add_f32_e32 v4, v4, v28
	s_delay_alu instid0(VALU_DEP_1) | instskip(SKIP_1) | instid1(VALU_DEP_1)
	v_add_f32_e32 v4, v4, v29
	s_wait_dscnt 0x1
	v_add_f32_e32 v4, v4, v30
	s_delay_alu instid0(VALU_DEP_1) | instskip(SKIP_1) | instid1(VALU_DEP_1)
	v_add_f32_e32 v4, v4, v31
	s_wait_dscnt 0x0
	v_add_f32_e32 v5, v4, v32
.LBB34_17:                              ;   in Loop: Header=BB34_8 Depth=1
	s_or_b32 exec_lo, exec_lo, s16
	s_wait_alu 0xfffe
	s_and_b32 vcc_lo, exec_lo, s5
	s_wait_alu 0xfffe
	s_cbranch_vccnz .LBB34_20
.LBB34_18:                              ;   in Loop: Header=BB34_8 Depth=1
	v_mov_b32_e32 v6, v5
	s_wait_alu 0xfffe
	s_and_saveexec_b32 s5, s4
	s_cbranch_execnz .LBB34_21
	s_branch .LBB34_22
.LBB34_19:                              ;   in Loop: Header=BB34_8 Depth=1
	s_mov_b32 s4, 0
                                        ; implicit-def: $vgpr5
	s_cbranch_execz .LBB34_18
.LBB34_20:                              ;   in Loop: Header=BB34_8 Depth=1
	s_wait_alu 0xfffe
	s_and_not1_b32 s4, s4, exec_lo
	s_and_b32 s5, s3, exec_lo
	s_wait_alu 0xfffe
	s_or_b32 s4, s4, s5
	s_wait_alu 0xfffe
	s_and_saveexec_b32 s5, s4
.LBB34_21:                              ;   in Loop: Header=BB34_8 Depth=1
	ds_store_b32 v10, v6 offset:8192
.LBB34_22:                              ;   in Loop: Header=BB34_8 Depth=1
	s_wait_alu 0xfffe
	s_or_b32 exec_lo, exec_lo, s5
	s_wait_loadcnt_dscnt 0x0
	s_barrier_signal -1
	s_barrier_wait -1
	global_inv scope:SCOPE_SE
	s_and_saveexec_b32 s5, s0
	s_cbranch_execz .LBB34_7
; %bb.23:                               ;   in Loop: Header=BB34_8 Depth=1
	global_load_b32 v4, v10, s[12:13]
	ds_load_b32 v6, v10 offset:8192
	s_mov_b32 s16, 0
	s_wait_loadcnt 0x0
	v_xor_b32_e32 v7, 0x80000000, v4
	v_dual_mov_b32 v5, v3 :: v_dual_mov_b32 v4, v2
	s_wait_dscnt 0x0
	s_delay_alu instid0(VALU_DEP_2)
	v_dual_mov_b32 v28, v8 :: v_dual_mul_f32 v29, v6, v7
	v_dual_mov_b32 v7, v1 :: v_dual_mov_b32 v6, v0
.LBB34_24:                              ;   Parent Loop BB34_8 Depth=1
                                        ; =>  This Inner Loop Header: Depth=2
	flat_load_b32 v30, v[4:5]
	ds_load_b32 v31, v28
	v_add_co_u32 v6, vcc_lo, 0x400, v6
	s_wait_alu 0xfffd
	v_add_co_ci_u32_e64 v7, null, 0, v7, vcc_lo
	v_add_nc_u32_e32 v28, 0x1000, v28
	s_delay_alu instid0(VALU_DEP_2)
	v_cmp_le_i64_e32 vcc_lo, s[8:9], v[6:7]
	s_or_b32 s16, vcc_lo, s16
	s_wait_loadcnt_dscnt 0x0
	v_fmac_f32_e32 v30, v29, v31
	flat_store_b32 v[4:5], v30
	v_add_co_u32 v4, s4, 0x1000, v4
	s_wait_alu 0xf1ff
	v_add_co_ci_u32_e64 v5, null, 0, v5, s4
	s_and_not1_b32 exec_lo, exec_lo, s16
	s_cbranch_execnz .LBB34_24
	s_branch .LBB34_7
.LBB34_25:
	s_endpgm
	.section	.rodata,"a",@progbits
	.p2align	6, 0x0
	.amdhsa_kernel _ZN9rocsolver6v33100L22larf_left_kernel_smallILi1024EflPKPfEEvT1_S5_T2_lS5_lPKT0_lS6_lS5_l
		.amdhsa_group_segment_fixed_size 12288
		.amdhsa_private_segment_fixed_size 0
		.amdhsa_kernarg_size 96
		.amdhsa_user_sgpr_count 2
		.amdhsa_user_sgpr_dispatch_ptr 0
		.amdhsa_user_sgpr_queue_ptr 0
		.amdhsa_user_sgpr_kernarg_segment_ptr 1
		.amdhsa_user_sgpr_dispatch_id 0
		.amdhsa_user_sgpr_private_segment_size 0
		.amdhsa_wavefront_size32 1
		.amdhsa_uses_dynamic_stack 0
		.amdhsa_enable_private_segment 0
		.amdhsa_system_sgpr_workgroup_id_x 1
		.amdhsa_system_sgpr_workgroup_id_y 1
		.amdhsa_system_sgpr_workgroup_id_z 0
		.amdhsa_system_sgpr_workgroup_info 0
		.amdhsa_system_vgpr_workitem_id 0
		.amdhsa_next_free_vgpr 36
		.amdhsa_next_free_sgpr 29
		.amdhsa_reserve_vcc 1
		.amdhsa_float_round_mode_32 0
		.amdhsa_float_round_mode_16_64 0
		.amdhsa_float_denorm_mode_32 3
		.amdhsa_float_denorm_mode_16_64 3
		.amdhsa_fp16_overflow 0
		.amdhsa_workgroup_processor_mode 1
		.amdhsa_memory_ordered 1
		.amdhsa_forward_progress 1
		.amdhsa_inst_pref_size 14
		.amdhsa_round_robin_scheduling 0
		.amdhsa_exception_fp_ieee_invalid_op 0
		.amdhsa_exception_fp_denorm_src 0
		.amdhsa_exception_fp_ieee_div_zero 0
		.amdhsa_exception_fp_ieee_overflow 0
		.amdhsa_exception_fp_ieee_underflow 0
		.amdhsa_exception_fp_ieee_inexact 0
		.amdhsa_exception_int_div_zero 0
	.end_amdhsa_kernel
	.section	.text._ZN9rocsolver6v33100L22larf_left_kernel_smallILi1024EflPKPfEEvT1_S5_T2_lS5_lPKT0_lS6_lS5_l,"axG",@progbits,_ZN9rocsolver6v33100L22larf_left_kernel_smallILi1024EflPKPfEEvT1_S5_T2_lS5_lPKT0_lS6_lS5_l,comdat
.Lfunc_end34:
	.size	_ZN9rocsolver6v33100L22larf_left_kernel_smallILi1024EflPKPfEEvT1_S5_T2_lS5_lPKT0_lS6_lS5_l, .Lfunc_end34-_ZN9rocsolver6v33100L22larf_left_kernel_smallILi1024EflPKPfEEvT1_S5_T2_lS5_lPKT0_lS6_lS5_l
                                        ; -- End function
	.set _ZN9rocsolver6v33100L22larf_left_kernel_smallILi1024EflPKPfEEvT1_S5_T2_lS5_lPKT0_lS6_lS5_l.num_vgpr, 36
	.set _ZN9rocsolver6v33100L22larf_left_kernel_smallILi1024EflPKPfEEvT1_S5_T2_lS5_lPKT0_lS6_lS5_l.num_agpr, 0
	.set _ZN9rocsolver6v33100L22larf_left_kernel_smallILi1024EflPKPfEEvT1_S5_T2_lS5_lPKT0_lS6_lS5_l.numbered_sgpr, 29
	.set _ZN9rocsolver6v33100L22larf_left_kernel_smallILi1024EflPKPfEEvT1_S5_T2_lS5_lPKT0_lS6_lS5_l.num_named_barrier, 0
	.set _ZN9rocsolver6v33100L22larf_left_kernel_smallILi1024EflPKPfEEvT1_S5_T2_lS5_lPKT0_lS6_lS5_l.private_seg_size, 0
	.set _ZN9rocsolver6v33100L22larf_left_kernel_smallILi1024EflPKPfEEvT1_S5_T2_lS5_lPKT0_lS6_lS5_l.uses_vcc, 1
	.set _ZN9rocsolver6v33100L22larf_left_kernel_smallILi1024EflPKPfEEvT1_S5_T2_lS5_lPKT0_lS6_lS5_l.uses_flat_scratch, 0
	.set _ZN9rocsolver6v33100L22larf_left_kernel_smallILi1024EflPKPfEEvT1_S5_T2_lS5_lPKT0_lS6_lS5_l.has_dyn_sized_stack, 0
	.set _ZN9rocsolver6v33100L22larf_left_kernel_smallILi1024EflPKPfEEvT1_S5_T2_lS5_lPKT0_lS6_lS5_l.has_recursion, 0
	.set _ZN9rocsolver6v33100L22larf_left_kernel_smallILi1024EflPKPfEEvT1_S5_T2_lS5_lPKT0_lS6_lS5_l.has_indirect_call, 0
	.section	.AMDGPU.csdata,"",@progbits
; Kernel info:
; codeLenInByte = 1776
; TotalNumSgprs: 31
; NumVgprs: 36
; ScratchSize: 0
; MemoryBound: 0
; FloatMode: 240
; IeeeMode: 1
; LDSByteSize: 12288 bytes/workgroup (compile time only)
; SGPRBlocks: 0
; VGPRBlocks: 4
; NumSGPRsForWavesPerEU: 31
; NumVGPRsForWavesPerEU: 36
; Occupancy: 16
; WaveLimiterHint : 0
; COMPUTE_PGM_RSRC2:SCRATCH_EN: 0
; COMPUTE_PGM_RSRC2:USER_SGPR: 2
; COMPUTE_PGM_RSRC2:TRAP_HANDLER: 0
; COMPUTE_PGM_RSRC2:TGID_X_EN: 1
; COMPUTE_PGM_RSRC2:TGID_Y_EN: 1
; COMPUTE_PGM_RSRC2:TGID_Z_EN: 0
; COMPUTE_PGM_RSRC2:TIDIG_COMP_CNT: 0
	.section	.text._ZN9rocsolver6v33100L23larf_right_kernel_smallILi64EflPKPfEEvT1_S5_T2_lS5_lPKT0_lS6_lS5_l,"axG",@progbits,_ZN9rocsolver6v33100L23larf_right_kernel_smallILi64EflPKPfEEvT1_S5_T2_lS5_lPKT0_lS6_lS5_l,comdat
	.globl	_ZN9rocsolver6v33100L23larf_right_kernel_smallILi64EflPKPfEEvT1_S5_T2_lS5_lPKT0_lS6_lS5_l ; -- Begin function _ZN9rocsolver6v33100L23larf_right_kernel_smallILi64EflPKPfEEvT1_S5_T2_lS5_lPKT0_lS6_lS5_l
	.p2align	8
	.type	_ZN9rocsolver6v33100L23larf_right_kernel_smallILi64EflPKPfEEvT1_S5_T2_lS5_lPKT0_lS6_lS5_l,@function
_ZN9rocsolver6v33100L23larf_right_kernel_smallILi64EflPKPfEEvT1_S5_T2_lS5_lPKT0_lS6_lS5_l: ; @_ZN9rocsolver6v33100L23larf_right_kernel_smallILi64EflPKPfEEvT1_S5_T2_lS5_lPKT0_lS6_lS5_l
; %bb.0:
	s_clause 0x3
	s_load_b64 s[6:7], s[0:1], 0x20
	s_load_b256 s[16:23], s[0:1], 0x30
	s_load_b256 s[8:15], s[0:1], 0x0
	s_load_b64 s[4:5], s[0:1], 0x50
	s_mov_b32 s2, ttmp9
	s_mov_b32 s3, 0
	s_delay_alu instid0(SALU_CYCLE_1)
	s_lshl_b64 s[26:27], s[2:3], 3
	s_wait_kmcnt 0x0
	v_cmp_gt_i64_e64 s24, s[6:7], 0
	s_add_nc_u64 s[0:1], s[20:21], s[26:27]
	s_and_b32 vcc_lo, exec_lo, s24
	s_mov_b64 s[24:25], 0
	s_cbranch_vccnz .LBB35_2
; %bb.1:
	s_sub_nc_u64 s[20:21], 1, s[10:11]
	s_delay_alu instid0(SALU_CYCLE_1)
	s_mul_u64 s[24:25], s[6:7], s[20:21]
.LBB35_2:
	s_load_b64 s[20:21], s[0:1], 0x0
	v_dual_mov_b32 v1, 0 :: v_dual_lshlrev_b32 v8, 2, v0
	s_delay_alu instid0(VALU_DEP_1)
	v_cmp_gt_i64_e64 s0, s[10:11], v[0:1]
	s_and_saveexec_b32 s28, s0
	s_cbranch_execz .LBB35_5
; %bb.3:
	s_add_nc_u64 s[12:13], s[12:13], s[26:27]
	v_mad_co_u64_u32 v[2:3], null, s6, v0, 0
	s_load_b64 s[12:13], s[12:13], 0x0
	s_lshl_b64 s[14:15], s[14:15], 2
	s_lshl_b64 s[24:25], s[24:25], 2
	v_lshlrev_b32_e32 v6, 2, v0
	v_mad_co_u64_u32 v[3:4], null, s7, v0, v[3:4]
	v_dual_mov_b32 v5, v1 :: v_dual_mov_b32 v4, v0
	s_lshl_b64 s[6:7], s[6:7], 8
	s_delay_alu instid0(VALU_DEP_2) | instskip(SKIP_2) | instid1(SALU_CYCLE_1)
	v_lshlrev_b64_e32 v[2:3], 2, v[2:3]
	s_wait_kmcnt 0x0
	s_add_nc_u64 s[12:13], s[12:13], s[14:15]
	s_add_nc_u64 s[12:13], s[12:13], s[24:25]
	s_delay_alu instid0(VALU_DEP_1) | instid1(SALU_CYCLE_1)
	v_add_co_u32 v2, vcc_lo, s12, v2
	s_delay_alu instid0(VALU_DEP_1)
	v_add_co_ci_u32_e64 v3, null, s13, v3, vcc_lo
	s_mov_b32 s12, 0
.LBB35_4:                               ; =>This Inner Loop Header: Depth=1
	flat_load_b32 v7, v[2:3]
	v_add_co_u32 v4, vcc_lo, v4, 64
	s_wait_alu 0xfffd
	v_add_co_ci_u32_e64 v5, null, 0, v5, vcc_lo
	s_wait_alu 0xfffe
	v_add_co_u32 v2, vcc_lo, v2, s6
	s_wait_alu 0xfffd
	v_add_co_ci_u32_e64 v3, null, s7, v3, vcc_lo
	v_cmp_le_i64_e64 s1, s[10:11], v[4:5]
	s_or_b32 s12, s1, s12
	s_wait_loadcnt_dscnt 0x0
	ds_store_b32 v6, v7
	v_add_nc_u32_e32 v6, 0x100, v6
	s_wait_alu 0xfffe
	s_and_not1_b32 exec_lo, exec_lo, s12
	s_cbranch_execnz .LBB35_4
.LBB35_5:
	s_or_b32 exec_lo, exec_lo, s28
	s_mov_b32 s6, ttmp7
	s_mov_b32 s7, 0
	s_wait_dscnt 0x0
	s_wait_alu 0xfffe
	v_cmp_le_i64_e64 s1, s[8:9], s[6:7]
	s_barrier_signal -1
	s_barrier_wait -1
	global_inv scope:SCOPE_SE
	s_and_b32 vcc_lo, exec_lo, s1
	s_wait_alu 0xfffe
	s_cbranch_vccnz .LBB35_25
; %bb.6:
	v_mad_co_u64_u32 v[2:3], null, s4, v0, 0
	s_mul_u64 s[12:13], s[18:19], s[2:3]
	s_lshl_b64 s[14:15], s[22:23], 2
	s_wait_alu 0xfffe
	s_lshl_b64 s[22:23], s[12:13], 2
	s_cmp_gt_i32 s10, 1
	s_wait_kmcnt 0x0
	s_add_nc_u64 s[12:13], s[20:21], s[14:15]
	s_cselect_b32 s18, -1, 0
	v_mad_co_u64_u32 v[3:4], null, s5, v0, v[3:4]
	s_lshl_b64 s[24:25], s[6:7], 2
	v_dual_mov_b32 v13, 0 :: v_dual_and_b32 v4, 31, v0
	s_add_nc_u64 s[20:21], s[20:21], s[24:25]
	v_mbcnt_lo_u32_b32 v11, -1, 0
	s_add_nc_u64 s[14:15], s[20:21], s[14:15]
	v_lshlrev_b64_e32 v[2:3], 2, v[2:3]
	v_mul_lo_u32 v10, v0, s4
	v_cmp_gt_i32_e64 s1, s10, v0
	v_lshrrev_b32_e32 v9, 3, v0
	v_cmp_eq_u32_e64 s2, 0, v0
	v_cmp_eq_u32_e64 s3, 0, v4
	v_add_co_u32 v2, vcc_lo, s14, v2
	v_lshl_or_b32 v12, v11, 2, 64
	s_wait_alu 0xfffd
	v_add_co_ci_u32_e64 v3, null, s15, v3, vcc_lo
	s_add_nc_u64 s[14:15], s[16:17], s[22:23]
	s_lshl_b32 s19, s4, 6
	s_lshl_b64 s[16:17], s[4:5], 8
	s_branch .LBB35_8
.LBB35_7:                               ;   in Loop: Header=BB35_8 Depth=1
	s_wait_alu 0xfffe
	s_or_b32 exec_lo, exec_lo, s5
	s_add_nc_u64 s[6:7], s[6:7], 64
	v_add_co_u32 v2, vcc_lo, 0x100, v2
	s_wait_alu 0xfffe
	v_cmp_ge_i64_e64 s4, s[6:7], s[8:9]
	s_wait_alu 0xfffd
	v_add_co_ci_u32_e64 v3, null, 0, v3, vcc_lo
	s_and_b32 vcc_lo, exec_lo, s4
	s_wait_alu 0xfffe
	s_cbranch_vccnz .LBB35_25
.LBB35_8:                               ; =>This Loop Header: Depth=1
                                        ;     Child Loop BB35_10 Depth 2
                                        ;     Child Loop BB35_24 Depth 2
	v_mov_b32_e32 v6, 0
	s_and_saveexec_b32 s20, s1
	s_cbranch_execz .LBB35_12
; %bb.9:                                ;   in Loop: Header=BB35_8 Depth=1
	v_dual_mov_b32 v6, 0 :: v_dual_mov_b32 v7, v8
	v_mov_b32_e32 v4, v10
	v_mov_b32_e32 v14, v0
	s_lshl_b64 s[4:5], s[6:7], 2
	s_mov_b32 s21, 0
	s_wait_alu 0xfffe
	s_add_nc_u64 s[4:5], s[12:13], s[4:5]
.LBB35_10:                              ;   Parent Loop BB35_8 Depth=1
                                        ; =>  This Inner Loop Header: Depth=2
	v_ashrrev_i32_e32 v5, 31, v4
	v_add_nc_u32_e32 v14, 64, v14
	s_delay_alu instid0(VALU_DEP_2) | instskip(SKIP_2) | instid1(VALU_DEP_2)
	v_lshlrev_b64_e32 v[15:16], 2, v[4:5]
	v_add_nc_u32_e32 v4, s19, v4
	s_wait_alu 0xfffe
	v_add_co_u32 v15, vcc_lo, s4, v15
	s_wait_alu 0xfffd
	s_delay_alu instid0(VALU_DEP_3)
	v_add_co_ci_u32_e64 v16, null, s5, v16, vcc_lo
	v_cmp_le_i32_e32 vcc_lo, s10, v14
	flat_load_b32 v5, v[15:16]
	ds_load_b32 v15, v7
	v_add_nc_u32_e32 v7, 0x100, v7
	s_or_b32 s21, vcc_lo, s21
	s_wait_loadcnt_dscnt 0x0
	v_fmac_f32_e32 v6, v15, v5
	s_and_not1_b32 exec_lo, exec_lo, s21
	s_cbranch_execnz .LBB35_10
; %bb.11:                               ;   in Loop: Header=BB35_8 Depth=1
	s_or_b32 exec_lo, exec_lo, s21
.LBB35_12:                              ;   in Loop: Header=BB35_8 Depth=1
	s_delay_alu instid0(SALU_CYCLE_1) | instskip(NEXT) | instid1(SALU_CYCLE_1)
	s_or_b32 exec_lo, exec_lo, s20
	s_and_b32 vcc_lo, exec_lo, s18
	s_wait_alu 0xfffe
	s_cbranch_vccz .LBB35_19
; %bb.13:                               ;   in Loop: Header=BB35_8 Depth=1
	v_cmp_ne_u32_e32 vcc_lo, 31, v11
	s_wait_alu 0xfffd
	v_add_co_ci_u32_e64 v4, null, 0, v11, vcc_lo
	v_cmp_gt_u32_e32 vcc_lo, 30, v11
	s_delay_alu instid0(VALU_DEP_2)
	v_lshlrev_b32_e32 v4, 2, v4
	s_wait_alu 0xfffd
	v_cndmask_b32_e64 v5, 0, 2, vcc_lo
	v_cmp_gt_u32_e32 vcc_lo, 28, v11
	ds_bpermute_b32 v4, v4, v6
	v_add_lshl_u32 v5, v5, v11, 2
	s_wait_alu 0xfffd
	v_cndmask_b32_e64 v7, 0, 4, vcc_lo
	v_cmp_gt_u32_e32 vcc_lo, 24, v11
	s_delay_alu instid0(VALU_DEP_2)
	v_add_lshl_u32 v7, v7, v11, 2
	s_wait_dscnt 0x0
	v_add_f32_e32 v4, v6, v4
	ds_bpermute_b32 v5, v5, v4
	s_wait_dscnt 0x0
	v_add_f32_e32 v4, v4, v5
	ds_bpermute_b32 v5, v7, v4
	s_wait_alu 0xfffd
	v_cndmask_b32_e64 v7, 0, 8, vcc_lo
	s_wait_dscnt 0x0
	v_add_f32_e32 v4, v4, v5
	s_delay_alu instid0(VALU_DEP_2)
	v_add_lshl_u32 v5, v7, v11, 2
	ds_bpermute_b32 v5, v5, v4
	s_wait_dscnt 0x0
	v_add_f32_e32 v4, v4, v5
	ds_bpermute_b32 v5, v12, v4
	s_wait_dscnt 0x0
	v_add_f32_e32 v5, v4, v5
	s_and_saveexec_b32 s4, s3
; %bb.14:                               ;   in Loop: Header=BB35_8 Depth=1
	ds_store_b32 v9, v5 offset:8192
; %bb.15:                               ;   in Loop: Header=BB35_8 Depth=1
	s_wait_alu 0xfffe
	s_or_b32 exec_lo, exec_lo, s4
	s_mov_b32 s5, 0
	s_mov_b32 s4, 0
	s_wait_loadcnt_dscnt 0x0
	s_barrier_signal -1
	s_barrier_wait -1
	global_inv scope:SCOPE_SE
                                        ; implicit-def: $vgpr4
	s_and_saveexec_b32 s20, s2
	s_delay_alu instid0(SALU_CYCLE_1)
	s_xor_b32 s20, exec_lo, s20
	s_cbranch_execz .LBB35_17
; %bb.16:                               ;   in Loop: Header=BB35_8 Depth=1
	ds_load_b32 v4, v13 offset:8196
	s_mov_b32 s4, exec_lo
	s_wait_dscnt 0x0
	v_add_f32_e32 v4, v5, v4
.LBB35_17:                              ;   in Loop: Header=BB35_8 Depth=1
	s_or_b32 exec_lo, exec_lo, s20
	s_wait_alu 0xfffe
	s_and_b32 vcc_lo, exec_lo, s5
	s_wait_alu 0xfffe
	s_cbranch_vccnz .LBB35_20
.LBB35_18:                              ;   in Loop: Header=BB35_8 Depth=1
	v_mov_b32_e32 v6, v4
	s_wait_alu 0xfffe
	s_and_saveexec_b32 s5, s4
	s_cbranch_execnz .LBB35_21
	s_branch .LBB35_22
.LBB35_19:                              ;   in Loop: Header=BB35_8 Depth=1
	s_mov_b32 s4, 0
                                        ; implicit-def: $vgpr4
	s_cbranch_execz .LBB35_18
.LBB35_20:                              ;   in Loop: Header=BB35_8 Depth=1
	s_wait_alu 0xfffe
	s_and_not1_b32 s4, s4, exec_lo
	s_and_b32 s5, s2, exec_lo
	s_wait_alu 0xfffe
	s_or_b32 s4, s4, s5
	s_wait_alu 0xfffe
	s_and_saveexec_b32 s5, s4
.LBB35_21:                              ;   in Loop: Header=BB35_8 Depth=1
	ds_store_b32 v13, v6 offset:8192
.LBB35_22:                              ;   in Loop: Header=BB35_8 Depth=1
	s_wait_alu 0xfffe
	s_or_b32 exec_lo, exec_lo, s5
	s_wait_loadcnt_dscnt 0x0
	s_barrier_signal -1
	s_barrier_wait -1
	global_inv scope:SCOPE_SE
	s_and_saveexec_b32 s5, s0
	s_cbranch_execz .LBB35_7
; %bb.23:                               ;   in Loop: Header=BB35_8 Depth=1
	global_load_b32 v4, v13, s[14:15]
	ds_load_b32 v6, v13 offset:8192
	v_mov_b32_e32 v14, v8
	s_mov_b32 s20, 0
	s_wait_loadcnt 0x0
	v_xor_b32_e32 v7, 0x80000000, v4
	v_dual_mov_b32 v5, v3 :: v_dual_mov_b32 v4, v2
	s_wait_dscnt 0x0
	s_delay_alu instid0(VALU_DEP_2)
	v_mul_f32_e32 v15, v6, v7
	v_dual_mov_b32 v7, v1 :: v_dual_mov_b32 v6, v0
.LBB35_24:                              ;   Parent Loop BB35_8 Depth=1
                                        ; =>  This Inner Loop Header: Depth=2
	flat_load_b32 v16, v[4:5]
	ds_load_b32 v17, v14
	v_add_co_u32 v6, vcc_lo, v6, 64
	s_wait_alu 0xfffd
	v_add_co_ci_u32_e64 v7, null, 0, v7, vcc_lo
	v_add_nc_u32_e32 v14, 0x100, v14
	s_delay_alu instid0(VALU_DEP_2)
	v_cmp_le_i64_e32 vcc_lo, s[10:11], v[6:7]
	s_or_b32 s20, vcc_lo, s20
	s_wait_loadcnt_dscnt 0x0
	v_fmac_f32_e32 v16, v15, v17
	flat_store_b32 v[4:5], v16
	v_add_co_u32 v4, s4, v4, s16
	s_wait_alu 0xf1ff
	v_add_co_ci_u32_e64 v5, null, s17, v5, s4
	s_and_not1_b32 exec_lo, exec_lo, s20
	s_cbranch_execnz .LBB35_24
	s_branch .LBB35_7
.LBB35_25:
	s_endpgm
	.section	.rodata,"a",@progbits
	.p2align	6, 0x0
	.amdhsa_kernel _ZN9rocsolver6v33100L23larf_right_kernel_smallILi64EflPKPfEEvT1_S5_T2_lS5_lPKT0_lS6_lS5_l
		.amdhsa_group_segment_fixed_size 8200
		.amdhsa_private_segment_fixed_size 0
		.amdhsa_kernarg_size 96
		.amdhsa_user_sgpr_count 2
		.amdhsa_user_sgpr_dispatch_ptr 0
		.amdhsa_user_sgpr_queue_ptr 0
		.amdhsa_user_sgpr_kernarg_segment_ptr 1
		.amdhsa_user_sgpr_dispatch_id 0
		.amdhsa_user_sgpr_private_segment_size 0
		.amdhsa_wavefront_size32 1
		.amdhsa_uses_dynamic_stack 0
		.amdhsa_enable_private_segment 0
		.amdhsa_system_sgpr_workgroup_id_x 1
		.amdhsa_system_sgpr_workgroup_id_y 1
		.amdhsa_system_sgpr_workgroup_id_z 0
		.amdhsa_system_sgpr_workgroup_info 0
		.amdhsa_system_vgpr_workitem_id 0
		.amdhsa_next_free_vgpr 169
		.amdhsa_next_free_sgpr 29
		.amdhsa_reserve_vcc 1
		.amdhsa_float_round_mode_32 0
		.amdhsa_float_round_mode_16_64 0
		.amdhsa_float_denorm_mode_32 3
		.amdhsa_float_denorm_mode_16_64 3
		.amdhsa_fp16_overflow 0
		.amdhsa_workgroup_processor_mode 1
		.amdhsa_memory_ordered 1
		.amdhsa_forward_progress 1
		.amdhsa_inst_pref_size 11
		.amdhsa_round_robin_scheduling 0
		.amdhsa_exception_fp_ieee_invalid_op 0
		.amdhsa_exception_fp_denorm_src 0
		.amdhsa_exception_fp_ieee_div_zero 0
		.amdhsa_exception_fp_ieee_overflow 0
		.amdhsa_exception_fp_ieee_underflow 0
		.amdhsa_exception_fp_ieee_inexact 0
		.amdhsa_exception_int_div_zero 0
	.end_amdhsa_kernel
	.section	.text._ZN9rocsolver6v33100L23larf_right_kernel_smallILi64EflPKPfEEvT1_S5_T2_lS5_lPKT0_lS6_lS5_l,"axG",@progbits,_ZN9rocsolver6v33100L23larf_right_kernel_smallILi64EflPKPfEEvT1_S5_T2_lS5_lPKT0_lS6_lS5_l,comdat
.Lfunc_end35:
	.size	_ZN9rocsolver6v33100L23larf_right_kernel_smallILi64EflPKPfEEvT1_S5_T2_lS5_lPKT0_lS6_lS5_l, .Lfunc_end35-_ZN9rocsolver6v33100L23larf_right_kernel_smallILi64EflPKPfEEvT1_S5_T2_lS5_lPKT0_lS6_lS5_l
                                        ; -- End function
	.set _ZN9rocsolver6v33100L23larf_right_kernel_smallILi64EflPKPfEEvT1_S5_T2_lS5_lPKT0_lS6_lS5_l.num_vgpr, 18
	.set _ZN9rocsolver6v33100L23larf_right_kernel_smallILi64EflPKPfEEvT1_S5_T2_lS5_lPKT0_lS6_lS5_l.num_agpr, 0
	.set _ZN9rocsolver6v33100L23larf_right_kernel_smallILi64EflPKPfEEvT1_S5_T2_lS5_lPKT0_lS6_lS5_l.numbered_sgpr, 29
	.set _ZN9rocsolver6v33100L23larf_right_kernel_smallILi64EflPKPfEEvT1_S5_T2_lS5_lPKT0_lS6_lS5_l.num_named_barrier, 0
	.set _ZN9rocsolver6v33100L23larf_right_kernel_smallILi64EflPKPfEEvT1_S5_T2_lS5_lPKT0_lS6_lS5_l.private_seg_size, 0
	.set _ZN9rocsolver6v33100L23larf_right_kernel_smallILi64EflPKPfEEvT1_S5_T2_lS5_lPKT0_lS6_lS5_l.uses_vcc, 1
	.set _ZN9rocsolver6v33100L23larf_right_kernel_smallILi64EflPKPfEEvT1_S5_T2_lS5_lPKT0_lS6_lS5_l.uses_flat_scratch, 0
	.set _ZN9rocsolver6v33100L23larf_right_kernel_smallILi64EflPKPfEEvT1_S5_T2_lS5_lPKT0_lS6_lS5_l.has_dyn_sized_stack, 0
	.set _ZN9rocsolver6v33100L23larf_right_kernel_smallILi64EflPKPfEEvT1_S5_T2_lS5_lPKT0_lS6_lS5_l.has_recursion, 0
	.set _ZN9rocsolver6v33100L23larf_right_kernel_smallILi64EflPKPfEEvT1_S5_T2_lS5_lPKT0_lS6_lS5_l.has_indirect_call, 0
	.section	.AMDGPU.csdata,"",@progbits
; Kernel info:
; codeLenInByte = 1356
; TotalNumSgprs: 31
; NumVgprs: 18
; ScratchSize: 0
; MemoryBound: 0
; FloatMode: 240
; IeeeMode: 1
; LDSByteSize: 8200 bytes/workgroup (compile time only)
; SGPRBlocks: 0
; VGPRBlocks: 21
; NumSGPRsForWavesPerEU: 31
; NumVGPRsForWavesPerEU: 169
; Occupancy: 8
; WaveLimiterHint : 1
; COMPUTE_PGM_RSRC2:SCRATCH_EN: 0
; COMPUTE_PGM_RSRC2:USER_SGPR: 2
; COMPUTE_PGM_RSRC2:TRAP_HANDLER: 0
; COMPUTE_PGM_RSRC2:TGID_X_EN: 1
; COMPUTE_PGM_RSRC2:TGID_Y_EN: 1
; COMPUTE_PGM_RSRC2:TGID_Z_EN: 0
; COMPUTE_PGM_RSRC2:TIDIG_COMP_CNT: 0
	.section	.text._ZN9rocsolver6v33100L23larf_right_kernel_smallILi128EflPKPfEEvT1_S5_T2_lS5_lPKT0_lS6_lS5_l,"axG",@progbits,_ZN9rocsolver6v33100L23larf_right_kernel_smallILi128EflPKPfEEvT1_S5_T2_lS5_lPKT0_lS6_lS5_l,comdat
	.globl	_ZN9rocsolver6v33100L23larf_right_kernel_smallILi128EflPKPfEEvT1_S5_T2_lS5_lPKT0_lS6_lS5_l ; -- Begin function _ZN9rocsolver6v33100L23larf_right_kernel_smallILi128EflPKPfEEvT1_S5_T2_lS5_lPKT0_lS6_lS5_l
	.p2align	8
	.type	_ZN9rocsolver6v33100L23larf_right_kernel_smallILi128EflPKPfEEvT1_S5_T2_lS5_lPKT0_lS6_lS5_l,@function
_ZN9rocsolver6v33100L23larf_right_kernel_smallILi128EflPKPfEEvT1_S5_T2_lS5_lPKT0_lS6_lS5_l: ; @_ZN9rocsolver6v33100L23larf_right_kernel_smallILi128EflPKPfEEvT1_S5_T2_lS5_lPKT0_lS6_lS5_l
; %bb.0:
	s_clause 0x3
	s_load_b64 s[6:7], s[0:1], 0x20
	s_load_b256 s[16:23], s[0:1], 0x30
	s_load_b256 s[8:15], s[0:1], 0x0
	s_load_b64 s[4:5], s[0:1], 0x50
	s_mov_b32 s2, ttmp9
	s_mov_b32 s3, 0
	s_delay_alu instid0(SALU_CYCLE_1)
	s_lshl_b64 s[26:27], s[2:3], 3
	s_wait_kmcnt 0x0
	v_cmp_gt_i64_e64 s24, s[6:7], 0
	s_add_nc_u64 s[0:1], s[20:21], s[26:27]
	s_and_b32 vcc_lo, exec_lo, s24
	s_mov_b64 s[24:25], 0
	s_cbranch_vccnz .LBB36_2
; %bb.1:
	s_sub_nc_u64 s[20:21], 1, s[10:11]
	s_delay_alu instid0(SALU_CYCLE_1)
	s_mul_u64 s[24:25], s[6:7], s[20:21]
.LBB36_2:
	s_load_b64 s[20:21], s[0:1], 0x0
	v_dual_mov_b32 v1, 0 :: v_dual_lshlrev_b32 v8, 2, v0
	s_delay_alu instid0(VALU_DEP_1)
	v_cmp_gt_i64_e64 s0, s[10:11], v[0:1]
	s_and_saveexec_b32 s28, s0
	s_cbranch_execz .LBB36_5
; %bb.3:
	s_add_nc_u64 s[12:13], s[12:13], s[26:27]
	v_mad_co_u64_u32 v[2:3], null, s6, v0, 0
	s_load_b64 s[12:13], s[12:13], 0x0
	s_lshl_b64 s[14:15], s[14:15], 2
	s_lshl_b64 s[24:25], s[24:25], 2
	v_lshlrev_b32_e32 v6, 2, v0
	v_mad_co_u64_u32 v[3:4], null, s7, v0, v[3:4]
	v_dual_mov_b32 v5, v1 :: v_dual_mov_b32 v4, v0
	s_lshl_b64 s[6:7], s[6:7], 9
	s_delay_alu instid0(VALU_DEP_2) | instskip(SKIP_2) | instid1(SALU_CYCLE_1)
	v_lshlrev_b64_e32 v[2:3], 2, v[2:3]
	s_wait_kmcnt 0x0
	s_add_nc_u64 s[12:13], s[12:13], s[14:15]
	s_add_nc_u64 s[12:13], s[12:13], s[24:25]
	s_delay_alu instid0(VALU_DEP_1) | instid1(SALU_CYCLE_1)
	v_add_co_u32 v2, vcc_lo, s12, v2
	s_delay_alu instid0(VALU_DEP_1)
	v_add_co_ci_u32_e64 v3, null, s13, v3, vcc_lo
	s_mov_b32 s12, 0
.LBB36_4:                               ; =>This Inner Loop Header: Depth=1
	flat_load_b32 v7, v[2:3]
	v_add_co_u32 v4, vcc_lo, 0x80, v4
	s_wait_alu 0xfffd
	v_add_co_ci_u32_e64 v5, null, 0, v5, vcc_lo
	s_wait_alu 0xfffe
	v_add_co_u32 v2, vcc_lo, v2, s6
	s_wait_alu 0xfffd
	v_add_co_ci_u32_e64 v3, null, s7, v3, vcc_lo
	v_cmp_le_i64_e64 s1, s[10:11], v[4:5]
	s_or_b32 s12, s1, s12
	s_wait_loadcnt_dscnt 0x0
	ds_store_b32 v6, v7
	v_add_nc_u32_e32 v6, 0x200, v6
	s_wait_alu 0xfffe
	s_and_not1_b32 exec_lo, exec_lo, s12
	s_cbranch_execnz .LBB36_4
.LBB36_5:
	s_or_b32 exec_lo, exec_lo, s28
	s_mov_b32 s6, ttmp7
	s_mov_b32 s7, 0
	s_wait_dscnt 0x0
	s_wait_alu 0xfffe
	v_cmp_le_i64_e64 s1, s[8:9], s[6:7]
	s_barrier_signal -1
	s_barrier_wait -1
	global_inv scope:SCOPE_SE
	s_and_b32 vcc_lo, exec_lo, s1
	s_wait_alu 0xfffe
	s_cbranch_vccnz .LBB36_25
; %bb.6:
	v_mad_co_u64_u32 v[2:3], null, s4, v0, 0
	s_mul_u64 s[12:13], s[18:19], s[2:3]
	s_lshl_b64 s[14:15], s[22:23], 2
	s_wait_alu 0xfffe
	s_lshl_b64 s[22:23], s[12:13], 2
	s_cmp_gt_i32 s10, 1
	s_wait_kmcnt 0x0
	s_add_nc_u64 s[12:13], s[20:21], s[14:15]
	s_cselect_b32 s18, -1, 0
	v_mad_co_u64_u32 v[3:4], null, s5, v0, v[3:4]
	s_lshl_b64 s[24:25], s[6:7], 2
	v_and_b32_e32 v4, 31, v0
	s_add_nc_u64 s[20:21], s[20:21], s[24:25]
	v_mbcnt_lo_u32_b32 v11, -1, 0
	s_add_nc_u64 s[14:15], s[20:21], s[14:15]
	v_mul_lo_u32 v10, v0, s4
	v_lshlrev_b64_e32 v[2:3], 2, v[2:3]
	v_cmp_gt_i32_e64 s1, s10, v0
	v_lshrrev_b32_e32 v9, 3, v0
	v_cmp_eq_u32_e64 s2, 0, v0
	v_mov_b32_e32 v12, 0x2004
	v_cmp_eq_u32_e64 s3, 0, v4
	v_add_co_u32 v2, vcc_lo, s14, v2
	v_lshl_or_b32 v13, v11, 2, 64
	s_wait_alu 0xfffd
	v_add_co_ci_u32_e64 v3, null, s15, v3, vcc_lo
	v_mov_b32_e32 v14, 0
	s_add_nc_u64 s[14:15], s[16:17], s[22:23]
	s_lshl_b32 s19, s4, 7
	s_lshl_b64 s[16:17], s[4:5], 9
	s_branch .LBB36_8
.LBB36_7:                               ;   in Loop: Header=BB36_8 Depth=1
	s_wait_alu 0xfffe
	s_or_b32 exec_lo, exec_lo, s5
	s_add_nc_u64 s[6:7], s[6:7], 64
	v_add_co_u32 v2, vcc_lo, 0x100, v2
	s_wait_alu 0xfffe
	v_cmp_ge_i64_e64 s4, s[6:7], s[8:9]
	s_wait_alu 0xfffd
	v_add_co_ci_u32_e64 v3, null, 0, v3, vcc_lo
	s_and_b32 vcc_lo, exec_lo, s4
	s_wait_alu 0xfffe
	s_cbranch_vccnz .LBB36_25
.LBB36_8:                               ; =>This Loop Header: Depth=1
                                        ;     Child Loop BB36_10 Depth 2
                                        ;     Child Loop BB36_24 Depth 2
	v_mov_b32_e32 v6, 0
	s_and_saveexec_b32 s20, s1
	s_cbranch_execz .LBB36_12
; %bb.9:                                ;   in Loop: Header=BB36_8 Depth=1
	v_dual_mov_b32 v6, 0 :: v_dual_mov_b32 v7, v8
	v_dual_mov_b32 v4, v10 :: v_dual_mov_b32 v15, v0
	s_lshl_b64 s[4:5], s[6:7], 2
	s_mov_b32 s21, 0
	s_wait_alu 0xfffe
	s_add_nc_u64 s[4:5], s[12:13], s[4:5]
.LBB36_10:                              ;   Parent Loop BB36_8 Depth=1
                                        ; =>  This Inner Loop Header: Depth=2
	v_ashrrev_i32_e32 v5, 31, v4
	s_delay_alu instid0(VALU_DEP_1) | instskip(SKIP_2) | instid1(VALU_DEP_2)
	v_lshlrev_b64_e32 v[16:17], 2, v[4:5]
	v_add_nc_u32_e32 v4, s19, v4
	s_wait_alu 0xfffe
	v_add_co_u32 v16, vcc_lo, s4, v16
	s_wait_alu 0xfffd
	s_delay_alu instid0(VALU_DEP_3)
	v_add_co_ci_u32_e64 v17, null, s5, v17, vcc_lo
	flat_load_b32 v5, v[16:17]
	ds_load_b32 v16, v7
	v_add_nc_u32_e32 v15, 0x80, v15
	s_wait_loadcnt_dscnt 0x0
	v_dual_fmac_f32 v6, v16, v5 :: v_dual_add_nc_u32 v7, 0x200, v7
	s_delay_alu instid0(VALU_DEP_2) | instskip(SKIP_1) | instid1(SALU_CYCLE_1)
	v_cmp_le_i32_e32 vcc_lo, s10, v15
	s_or_b32 s21, vcc_lo, s21
	s_and_not1_b32 exec_lo, exec_lo, s21
	s_cbranch_execnz .LBB36_10
; %bb.11:                               ;   in Loop: Header=BB36_8 Depth=1
	s_or_b32 exec_lo, exec_lo, s21
.LBB36_12:                              ;   in Loop: Header=BB36_8 Depth=1
	s_delay_alu instid0(SALU_CYCLE_1) | instskip(NEXT) | instid1(SALU_CYCLE_1)
	s_or_b32 exec_lo, exec_lo, s20
	s_and_b32 vcc_lo, exec_lo, s18
	s_wait_alu 0xfffe
	s_cbranch_vccz .LBB36_19
; %bb.13:                               ;   in Loop: Header=BB36_8 Depth=1
	v_cmp_ne_u32_e32 vcc_lo, 31, v11
	s_wait_alu 0xfffd
	v_add_co_ci_u32_e64 v4, null, 0, v11, vcc_lo
	v_cmp_gt_u32_e32 vcc_lo, 30, v11
	s_delay_alu instid0(VALU_DEP_2)
	v_lshlrev_b32_e32 v4, 2, v4
	s_wait_alu 0xfffd
	v_cndmask_b32_e64 v5, 0, 2, vcc_lo
	v_cmp_gt_u32_e32 vcc_lo, 28, v11
	ds_bpermute_b32 v4, v4, v6
	v_add_lshl_u32 v5, v5, v11, 2
	s_wait_alu 0xfffd
	v_cndmask_b32_e64 v7, 0, 4, vcc_lo
	v_cmp_gt_u32_e32 vcc_lo, 24, v11
	s_delay_alu instid0(VALU_DEP_2)
	v_add_lshl_u32 v7, v7, v11, 2
	s_wait_dscnt 0x0
	v_add_f32_e32 v4, v6, v4
	ds_bpermute_b32 v5, v5, v4
	s_wait_dscnt 0x0
	v_add_f32_e32 v4, v4, v5
	ds_bpermute_b32 v5, v7, v4
	s_wait_alu 0xfffd
	v_cndmask_b32_e64 v7, 0, 8, vcc_lo
	s_wait_dscnt 0x0
	v_add_f32_e32 v4, v4, v5
	s_delay_alu instid0(VALU_DEP_2)
	v_add_lshl_u32 v5, v7, v11, 2
	ds_bpermute_b32 v5, v5, v4
	s_wait_dscnt 0x0
	v_add_f32_e32 v4, v4, v5
	ds_bpermute_b32 v5, v13, v4
	s_wait_dscnt 0x0
	v_add_f32_e32 v5, v4, v5
	s_and_saveexec_b32 s4, s3
; %bb.14:                               ;   in Loop: Header=BB36_8 Depth=1
	ds_store_b32 v9, v5 offset:8192
; %bb.15:                               ;   in Loop: Header=BB36_8 Depth=1
	s_wait_alu 0xfffe
	s_or_b32 exec_lo, exec_lo, s4
	s_mov_b32 s5, 0
	s_mov_b32 s4, 0
	s_wait_loadcnt_dscnt 0x0
	s_barrier_signal -1
	s_barrier_wait -1
	global_inv scope:SCOPE_SE
                                        ; implicit-def: $vgpr4
	s_and_saveexec_b32 s20, s2
	s_delay_alu instid0(SALU_CYCLE_1)
	s_xor_b32 s20, exec_lo, s20
	s_cbranch_execz .LBB36_17
; %bb.16:                               ;   in Loop: Header=BB36_8 Depth=1
	ds_load_2addr_b32 v[15:16], v12 offset1:1
	ds_load_b32 v4, v14 offset:8204
	s_mov_b32 s4, exec_lo
	s_wait_dscnt 0x1
	v_add_f32_e32 v5, v5, v15
	s_delay_alu instid0(VALU_DEP_1) | instskip(SKIP_1) | instid1(VALU_DEP_1)
	v_add_f32_e32 v5, v5, v16
	s_wait_dscnt 0x0
	v_add_f32_e32 v4, v5, v4
.LBB36_17:                              ;   in Loop: Header=BB36_8 Depth=1
	s_or_b32 exec_lo, exec_lo, s20
	s_wait_alu 0xfffe
	s_and_b32 vcc_lo, exec_lo, s5
	s_wait_alu 0xfffe
	s_cbranch_vccnz .LBB36_20
.LBB36_18:                              ;   in Loop: Header=BB36_8 Depth=1
	v_mov_b32_e32 v6, v4
	s_wait_alu 0xfffe
	s_and_saveexec_b32 s5, s4
	s_cbranch_execnz .LBB36_21
	s_branch .LBB36_22
.LBB36_19:                              ;   in Loop: Header=BB36_8 Depth=1
	s_mov_b32 s4, 0
                                        ; implicit-def: $vgpr4
	s_cbranch_execz .LBB36_18
.LBB36_20:                              ;   in Loop: Header=BB36_8 Depth=1
	s_wait_alu 0xfffe
	s_and_not1_b32 s4, s4, exec_lo
	s_and_b32 s5, s2, exec_lo
	s_wait_alu 0xfffe
	s_or_b32 s4, s4, s5
	s_wait_alu 0xfffe
	s_and_saveexec_b32 s5, s4
.LBB36_21:                              ;   in Loop: Header=BB36_8 Depth=1
	ds_store_b32 v14, v6 offset:8192
.LBB36_22:                              ;   in Loop: Header=BB36_8 Depth=1
	s_wait_alu 0xfffe
	s_or_b32 exec_lo, exec_lo, s5
	s_wait_loadcnt_dscnt 0x0
	s_barrier_signal -1
	s_barrier_wait -1
	global_inv scope:SCOPE_SE
	s_and_saveexec_b32 s5, s0
	s_cbranch_execz .LBB36_7
; %bb.23:                               ;   in Loop: Header=BB36_8 Depth=1
	global_load_b32 v4, v14, s[14:15]
	ds_load_b32 v6, v14 offset:8192
	v_mov_b32_e32 v15, v8
	s_mov_b32 s20, 0
	s_wait_loadcnt 0x0
	v_xor_b32_e32 v7, 0x80000000, v4
	v_dual_mov_b32 v5, v3 :: v_dual_mov_b32 v4, v2
	s_wait_dscnt 0x0
	s_delay_alu instid0(VALU_DEP_2)
	v_dual_mul_f32 v16, v6, v7 :: v_dual_mov_b32 v7, v1
	v_mov_b32_e32 v6, v0
.LBB36_24:                              ;   Parent Loop BB36_8 Depth=1
                                        ; =>  This Inner Loop Header: Depth=2
	flat_load_b32 v17, v[4:5]
	ds_load_b32 v18, v15
	v_add_co_u32 v6, vcc_lo, 0x80, v6
	s_wait_alu 0xfffd
	v_add_co_ci_u32_e64 v7, null, 0, v7, vcc_lo
	v_add_nc_u32_e32 v15, 0x200, v15
	s_delay_alu instid0(VALU_DEP_2)
	v_cmp_le_i64_e32 vcc_lo, s[10:11], v[6:7]
	s_or_b32 s20, vcc_lo, s20
	s_wait_loadcnt_dscnt 0x0
	v_fmac_f32_e32 v17, v16, v18
	flat_store_b32 v[4:5], v17
	v_add_co_u32 v4, s4, v4, s16
	s_wait_alu 0xf1ff
	v_add_co_ci_u32_e64 v5, null, s17, v5, s4
	s_and_not1_b32 exec_lo, exec_lo, s20
	s_cbranch_execnz .LBB36_24
	s_branch .LBB36_7
.LBB36_25:
	s_endpgm
	.section	.rodata,"a",@progbits
	.p2align	6, 0x0
	.amdhsa_kernel _ZN9rocsolver6v33100L23larf_right_kernel_smallILi128EflPKPfEEvT1_S5_T2_lS5_lPKT0_lS6_lS5_l
		.amdhsa_group_segment_fixed_size 8208
		.amdhsa_private_segment_fixed_size 0
		.amdhsa_kernarg_size 96
		.amdhsa_user_sgpr_count 2
		.amdhsa_user_sgpr_dispatch_ptr 0
		.amdhsa_user_sgpr_queue_ptr 0
		.amdhsa_user_sgpr_kernarg_segment_ptr 1
		.amdhsa_user_sgpr_dispatch_id 0
		.amdhsa_user_sgpr_private_segment_size 0
		.amdhsa_wavefront_size32 1
		.amdhsa_uses_dynamic_stack 0
		.amdhsa_enable_private_segment 0
		.amdhsa_system_sgpr_workgroup_id_x 1
		.amdhsa_system_sgpr_workgroup_id_y 1
		.amdhsa_system_sgpr_workgroup_id_z 0
		.amdhsa_system_sgpr_workgroup_info 0
		.amdhsa_system_vgpr_workitem_id 0
		.amdhsa_next_free_vgpr 19
		.amdhsa_next_free_sgpr 29
		.amdhsa_reserve_vcc 1
		.amdhsa_float_round_mode_32 0
		.amdhsa_float_round_mode_16_64 0
		.amdhsa_float_denorm_mode_32 3
		.amdhsa_float_denorm_mode_16_64 3
		.amdhsa_fp16_overflow 0
		.amdhsa_workgroup_processor_mode 1
		.amdhsa_memory_ordered 1
		.amdhsa_forward_progress 1
		.amdhsa_inst_pref_size 11
		.amdhsa_round_robin_scheduling 0
		.amdhsa_exception_fp_ieee_invalid_op 0
		.amdhsa_exception_fp_denorm_src 0
		.amdhsa_exception_fp_ieee_div_zero 0
		.amdhsa_exception_fp_ieee_overflow 0
		.amdhsa_exception_fp_ieee_underflow 0
		.amdhsa_exception_fp_ieee_inexact 0
		.amdhsa_exception_int_div_zero 0
	.end_amdhsa_kernel
	.section	.text._ZN9rocsolver6v33100L23larf_right_kernel_smallILi128EflPKPfEEvT1_S5_T2_lS5_lPKT0_lS6_lS5_l,"axG",@progbits,_ZN9rocsolver6v33100L23larf_right_kernel_smallILi128EflPKPfEEvT1_S5_T2_lS5_lPKT0_lS6_lS5_l,comdat
.Lfunc_end36:
	.size	_ZN9rocsolver6v33100L23larf_right_kernel_smallILi128EflPKPfEEvT1_S5_T2_lS5_lPKT0_lS6_lS5_l, .Lfunc_end36-_ZN9rocsolver6v33100L23larf_right_kernel_smallILi128EflPKPfEEvT1_S5_T2_lS5_lPKT0_lS6_lS5_l
                                        ; -- End function
	.set _ZN9rocsolver6v33100L23larf_right_kernel_smallILi128EflPKPfEEvT1_S5_T2_lS5_lPKT0_lS6_lS5_l.num_vgpr, 19
	.set _ZN9rocsolver6v33100L23larf_right_kernel_smallILi128EflPKPfEEvT1_S5_T2_lS5_lPKT0_lS6_lS5_l.num_agpr, 0
	.set _ZN9rocsolver6v33100L23larf_right_kernel_smallILi128EflPKPfEEvT1_S5_T2_lS5_lPKT0_lS6_lS5_l.numbered_sgpr, 29
	.set _ZN9rocsolver6v33100L23larf_right_kernel_smallILi128EflPKPfEEvT1_S5_T2_lS5_lPKT0_lS6_lS5_l.num_named_barrier, 0
	.set _ZN9rocsolver6v33100L23larf_right_kernel_smallILi128EflPKPfEEvT1_S5_T2_lS5_lPKT0_lS6_lS5_l.private_seg_size, 0
	.set _ZN9rocsolver6v33100L23larf_right_kernel_smallILi128EflPKPfEEvT1_S5_T2_lS5_lPKT0_lS6_lS5_l.uses_vcc, 1
	.set _ZN9rocsolver6v33100L23larf_right_kernel_smallILi128EflPKPfEEvT1_S5_T2_lS5_lPKT0_lS6_lS5_l.uses_flat_scratch, 0
	.set _ZN9rocsolver6v33100L23larf_right_kernel_smallILi128EflPKPfEEvT1_S5_T2_lS5_lPKT0_lS6_lS5_l.has_dyn_sized_stack, 0
	.set _ZN9rocsolver6v33100L23larf_right_kernel_smallILi128EflPKPfEEvT1_S5_T2_lS5_lPKT0_lS6_lS5_l.has_recursion, 0
	.set _ZN9rocsolver6v33100L23larf_right_kernel_smallILi128EflPKPfEEvT1_S5_T2_lS5_lPKT0_lS6_lS5_l.has_indirect_call, 0
	.section	.AMDGPU.csdata,"",@progbits
; Kernel info:
; codeLenInByte = 1404
; TotalNumSgprs: 31
; NumVgprs: 19
; ScratchSize: 0
; MemoryBound: 0
; FloatMode: 240
; IeeeMode: 1
; LDSByteSize: 8208 bytes/workgroup (compile time only)
; SGPRBlocks: 0
; VGPRBlocks: 2
; NumSGPRsForWavesPerEU: 31
; NumVGPRsForWavesPerEU: 19
; Occupancy: 15
; WaveLimiterHint : 1
; COMPUTE_PGM_RSRC2:SCRATCH_EN: 0
; COMPUTE_PGM_RSRC2:USER_SGPR: 2
; COMPUTE_PGM_RSRC2:TRAP_HANDLER: 0
; COMPUTE_PGM_RSRC2:TGID_X_EN: 1
; COMPUTE_PGM_RSRC2:TGID_Y_EN: 1
; COMPUTE_PGM_RSRC2:TGID_Z_EN: 0
; COMPUTE_PGM_RSRC2:TIDIG_COMP_CNT: 0
	.section	.text._ZN9rocsolver6v33100L23larf_right_kernel_smallILi256EflPKPfEEvT1_S5_T2_lS5_lPKT0_lS6_lS5_l,"axG",@progbits,_ZN9rocsolver6v33100L23larf_right_kernel_smallILi256EflPKPfEEvT1_S5_T2_lS5_lPKT0_lS6_lS5_l,comdat
	.globl	_ZN9rocsolver6v33100L23larf_right_kernel_smallILi256EflPKPfEEvT1_S5_T2_lS5_lPKT0_lS6_lS5_l ; -- Begin function _ZN9rocsolver6v33100L23larf_right_kernel_smallILi256EflPKPfEEvT1_S5_T2_lS5_lPKT0_lS6_lS5_l
	.p2align	8
	.type	_ZN9rocsolver6v33100L23larf_right_kernel_smallILi256EflPKPfEEvT1_S5_T2_lS5_lPKT0_lS6_lS5_l,@function
_ZN9rocsolver6v33100L23larf_right_kernel_smallILi256EflPKPfEEvT1_S5_T2_lS5_lPKT0_lS6_lS5_l: ; @_ZN9rocsolver6v33100L23larf_right_kernel_smallILi256EflPKPfEEvT1_S5_T2_lS5_lPKT0_lS6_lS5_l
; %bb.0:
	s_clause 0x3
	s_load_b64 s[6:7], s[0:1], 0x20
	s_load_b256 s[16:23], s[0:1], 0x30
	s_load_b256 s[8:15], s[0:1], 0x0
	s_load_b64 s[4:5], s[0:1], 0x50
	s_mov_b32 s2, ttmp9
	s_mov_b32 s3, 0
	s_delay_alu instid0(SALU_CYCLE_1)
	s_lshl_b64 s[26:27], s[2:3], 3
	s_wait_kmcnt 0x0
	v_cmp_gt_i64_e64 s24, s[6:7], 0
	s_add_nc_u64 s[0:1], s[20:21], s[26:27]
	s_and_b32 vcc_lo, exec_lo, s24
	s_mov_b64 s[24:25], 0
	s_cbranch_vccnz .LBB37_2
; %bb.1:
	s_sub_nc_u64 s[20:21], 1, s[10:11]
	s_delay_alu instid0(SALU_CYCLE_1)
	s_mul_u64 s[24:25], s[6:7], s[20:21]
.LBB37_2:
	s_load_b64 s[20:21], s[0:1], 0x0
	v_dual_mov_b32 v1, 0 :: v_dual_lshlrev_b32 v8, 2, v0
	s_delay_alu instid0(VALU_DEP_1)
	v_cmp_gt_i64_e64 s0, s[10:11], v[0:1]
	s_and_saveexec_b32 s28, s0
	s_cbranch_execz .LBB37_5
; %bb.3:
	s_add_nc_u64 s[12:13], s[12:13], s[26:27]
	v_mad_co_u64_u32 v[2:3], null, s6, v0, 0
	s_load_b64 s[12:13], s[12:13], 0x0
	s_lshl_b64 s[14:15], s[14:15], 2
	s_lshl_b64 s[24:25], s[24:25], 2
	v_lshlrev_b32_e32 v6, 2, v0
	v_mad_co_u64_u32 v[3:4], null, s7, v0, v[3:4]
	v_dual_mov_b32 v5, v1 :: v_dual_mov_b32 v4, v0
	s_lshl_b64 s[6:7], s[6:7], 10
	s_delay_alu instid0(VALU_DEP_2) | instskip(SKIP_2) | instid1(SALU_CYCLE_1)
	v_lshlrev_b64_e32 v[2:3], 2, v[2:3]
	s_wait_kmcnt 0x0
	s_add_nc_u64 s[12:13], s[12:13], s[14:15]
	s_add_nc_u64 s[12:13], s[12:13], s[24:25]
	s_delay_alu instid0(VALU_DEP_1) | instid1(SALU_CYCLE_1)
	v_add_co_u32 v2, vcc_lo, s12, v2
	s_delay_alu instid0(VALU_DEP_1)
	v_add_co_ci_u32_e64 v3, null, s13, v3, vcc_lo
	s_mov_b32 s12, 0
.LBB37_4:                               ; =>This Inner Loop Header: Depth=1
	flat_load_b32 v7, v[2:3]
	v_add_co_u32 v4, vcc_lo, 0x100, v4
	s_wait_alu 0xfffd
	v_add_co_ci_u32_e64 v5, null, 0, v5, vcc_lo
	s_wait_alu 0xfffe
	v_add_co_u32 v2, vcc_lo, v2, s6
	s_wait_alu 0xfffd
	v_add_co_ci_u32_e64 v3, null, s7, v3, vcc_lo
	v_cmp_le_i64_e64 s1, s[10:11], v[4:5]
	s_or_b32 s12, s1, s12
	s_wait_loadcnt_dscnt 0x0
	ds_store_b32 v6, v7
	v_add_nc_u32_e32 v6, 0x400, v6
	s_wait_alu 0xfffe
	s_and_not1_b32 exec_lo, exec_lo, s12
	s_cbranch_execnz .LBB37_4
.LBB37_5:
	s_or_b32 exec_lo, exec_lo, s28
	s_mov_b32 s6, ttmp7
	s_mov_b32 s7, 0
	s_wait_dscnt 0x0
	s_wait_alu 0xfffe
	v_cmp_le_i64_e64 s1, s[8:9], s[6:7]
	s_barrier_signal -1
	s_barrier_wait -1
	global_inv scope:SCOPE_SE
	s_and_b32 vcc_lo, exec_lo, s1
	s_wait_alu 0xfffe
	s_cbranch_vccnz .LBB37_25
; %bb.6:
	v_mad_co_u64_u32 v[2:3], null, s4, v0, 0
	s_mul_u64 s[12:13], s[18:19], s[2:3]
	s_lshl_b64 s[14:15], s[22:23], 2
	s_wait_alu 0xfffe
	s_lshl_b64 s[22:23], s[12:13], 2
	s_cmp_gt_i32 s10, 1
	s_wait_kmcnt 0x0
	s_add_nc_u64 s[12:13], s[20:21], s[14:15]
	s_cselect_b32 s18, -1, 0
	v_mad_co_u64_u32 v[3:4], null, s5, v0, v[3:4]
	s_lshl_b64 s[24:25], s[6:7], 2
	v_dual_mov_b32 v12, 0x2004 :: v_dual_and_b32 v5, 31, v0
	s_add_nc_u64 s[20:21], s[20:21], s[24:25]
	v_mbcnt_lo_u32_b32 v11, -1, 0
	s_add_nc_u64 s[14:15], s[20:21], s[14:15]
	v_lshlrev_b64_e32 v[2:3], 2, v[2:3]
	v_mul_lo_u32 v10, v0, s4
	v_cmp_gt_i32_e64 s1, s10, v0
	v_lshrrev_b32_e32 v9, 3, v0
	v_cmp_eq_u32_e64 s2, 0, v0
	v_dual_mov_b32 v13, 0x200c :: v_dual_mov_b32 v16, 0
	v_add_co_u32 v2, vcc_lo, s14, v2
	v_mov_b32_e32 v14, 0x2014
	v_cmp_eq_u32_e64 s3, 0, v5
	v_lshl_or_b32 v15, v11, 2, 64
	s_wait_alu 0xfffd
	v_add_co_ci_u32_e64 v3, null, s15, v3, vcc_lo
	s_add_nc_u64 s[14:15], s[16:17], s[22:23]
	s_lshl_b32 s19, s4, 8
	s_lshl_b64 s[16:17], s[4:5], 10
	s_branch .LBB37_8
.LBB37_7:                               ;   in Loop: Header=BB37_8 Depth=1
	s_wait_alu 0xfffe
	s_or_b32 exec_lo, exec_lo, s5
	s_add_nc_u64 s[6:7], s[6:7], 64
	v_add_co_u32 v2, vcc_lo, 0x100, v2
	s_wait_alu 0xfffe
	v_cmp_ge_i64_e64 s4, s[6:7], s[8:9]
	s_wait_alu 0xfffd
	v_add_co_ci_u32_e64 v3, null, 0, v3, vcc_lo
	s_and_b32 vcc_lo, exec_lo, s4
	s_wait_alu 0xfffe
	s_cbranch_vccnz .LBB37_25
.LBB37_8:                               ; =>This Loop Header: Depth=1
                                        ;     Child Loop BB37_10 Depth 2
                                        ;     Child Loop BB37_24 Depth 2
	v_mov_b32_e32 v6, 0
	s_and_saveexec_b32 s20, s1
	s_cbranch_execz .LBB37_12
; %bb.9:                                ;   in Loop: Header=BB37_8 Depth=1
	v_dual_mov_b32 v6, 0 :: v_dual_mov_b32 v7, v8
	v_dual_mov_b32 v4, v10 :: v_dual_mov_b32 v17, v0
	s_lshl_b64 s[4:5], s[6:7], 2
	s_mov_b32 s21, 0
	s_wait_alu 0xfffe
	s_add_nc_u64 s[4:5], s[12:13], s[4:5]
.LBB37_10:                              ;   Parent Loop BB37_8 Depth=1
                                        ; =>  This Inner Loop Header: Depth=2
	v_ashrrev_i32_e32 v5, 31, v4
	v_add_nc_u32_e32 v17, 0x100, v17
	s_delay_alu instid0(VALU_DEP_2) | instskip(SKIP_2) | instid1(VALU_DEP_2)
	v_lshlrev_b64_e32 v[18:19], 2, v[4:5]
	v_add_nc_u32_e32 v4, s19, v4
	s_wait_alu 0xfffe
	v_add_co_u32 v18, vcc_lo, s4, v18
	s_wait_alu 0xfffd
	s_delay_alu instid0(VALU_DEP_3)
	v_add_co_ci_u32_e64 v19, null, s5, v19, vcc_lo
	v_cmp_le_i32_e32 vcc_lo, s10, v17
	flat_load_b32 v5, v[18:19]
	ds_load_b32 v18, v7
	v_add_nc_u32_e32 v7, 0x400, v7
	s_or_b32 s21, vcc_lo, s21
	s_wait_loadcnt_dscnt 0x0
	v_fmac_f32_e32 v6, v18, v5
	s_and_not1_b32 exec_lo, exec_lo, s21
	s_cbranch_execnz .LBB37_10
; %bb.11:                               ;   in Loop: Header=BB37_8 Depth=1
	s_or_b32 exec_lo, exec_lo, s21
.LBB37_12:                              ;   in Loop: Header=BB37_8 Depth=1
	s_delay_alu instid0(SALU_CYCLE_1) | instskip(NEXT) | instid1(SALU_CYCLE_1)
	s_or_b32 exec_lo, exec_lo, s20
	s_and_b32 vcc_lo, exec_lo, s18
	s_wait_alu 0xfffe
	s_cbranch_vccz .LBB37_19
; %bb.13:                               ;   in Loop: Header=BB37_8 Depth=1
	v_cmp_ne_u32_e32 vcc_lo, 31, v11
	s_wait_alu 0xfffd
	v_add_co_ci_u32_e64 v4, null, 0, v11, vcc_lo
	v_cmp_gt_u32_e32 vcc_lo, 30, v11
	s_delay_alu instid0(VALU_DEP_2)
	v_lshlrev_b32_e32 v4, 2, v4
	s_wait_alu 0xfffd
	v_cndmask_b32_e64 v5, 0, 2, vcc_lo
	v_cmp_gt_u32_e32 vcc_lo, 28, v11
	ds_bpermute_b32 v4, v4, v6
	v_add_lshl_u32 v5, v5, v11, 2
	s_wait_alu 0xfffd
	v_cndmask_b32_e64 v7, 0, 4, vcc_lo
	v_cmp_gt_u32_e32 vcc_lo, 24, v11
	s_delay_alu instid0(VALU_DEP_2)
	v_add_lshl_u32 v7, v7, v11, 2
	s_wait_dscnt 0x0
	v_add_f32_e32 v4, v6, v4
	ds_bpermute_b32 v5, v5, v4
	s_wait_dscnt 0x0
	v_add_f32_e32 v4, v4, v5
	ds_bpermute_b32 v5, v7, v4
	s_wait_alu 0xfffd
	v_cndmask_b32_e64 v7, 0, 8, vcc_lo
	s_wait_dscnt 0x0
	v_add_f32_e32 v4, v4, v5
	s_delay_alu instid0(VALU_DEP_2)
	v_add_lshl_u32 v5, v7, v11, 2
	ds_bpermute_b32 v5, v5, v4
	s_wait_dscnt 0x0
	v_add_f32_e32 v4, v4, v5
	ds_bpermute_b32 v5, v15, v4
	s_wait_dscnt 0x0
	v_add_f32_e32 v4, v4, v5
	s_and_saveexec_b32 s4, s3
; %bb.14:                               ;   in Loop: Header=BB37_8 Depth=1
	ds_store_b32 v9, v4 offset:8192
; %bb.15:                               ;   in Loop: Header=BB37_8 Depth=1
	s_wait_alu 0xfffe
	s_or_b32 exec_lo, exec_lo, s4
	s_mov_b32 s5, 0
	s_mov_b32 s4, 0
	s_wait_loadcnt_dscnt 0x0
	s_barrier_signal -1
	s_barrier_wait -1
	global_inv scope:SCOPE_SE
                                        ; implicit-def: $vgpr5
	s_and_saveexec_b32 s20, s2
	s_delay_alu instid0(SALU_CYCLE_1)
	s_xor_b32 s20, exec_lo, s20
	s_cbranch_execz .LBB37_17
; %bb.16:                               ;   in Loop: Header=BB37_8 Depth=1
	ds_load_2addr_b32 v[17:18], v12 offset1:1
	ds_load_2addr_b32 v[19:20], v13 offset1:1
	;; [unrolled: 1-line block ×3, first 2 shown]
	ds_load_b32 v5, v16 offset:8220
	s_mov_b32 s4, exec_lo
	s_wait_dscnt 0x3
	v_add_f32_e32 v4, v4, v17
	s_delay_alu instid0(VALU_DEP_1) | instskip(SKIP_1) | instid1(VALU_DEP_1)
	v_add_f32_e32 v4, v4, v18
	s_wait_dscnt 0x2
	v_add_f32_e32 v4, v4, v19
	s_delay_alu instid0(VALU_DEP_1) | instskip(SKIP_1) | instid1(VALU_DEP_1)
	v_add_f32_e32 v4, v4, v20
	;; [unrolled: 4-line block ×3, first 2 shown]
	s_wait_dscnt 0x0
	v_add_f32_e32 v5, v4, v5
.LBB37_17:                              ;   in Loop: Header=BB37_8 Depth=1
	s_or_b32 exec_lo, exec_lo, s20
	s_wait_alu 0xfffe
	s_and_b32 vcc_lo, exec_lo, s5
	s_wait_alu 0xfffe
	s_cbranch_vccnz .LBB37_20
.LBB37_18:                              ;   in Loop: Header=BB37_8 Depth=1
	v_mov_b32_e32 v6, v5
	s_wait_alu 0xfffe
	s_and_saveexec_b32 s5, s4
	s_cbranch_execnz .LBB37_21
	s_branch .LBB37_22
.LBB37_19:                              ;   in Loop: Header=BB37_8 Depth=1
	s_mov_b32 s4, 0
                                        ; implicit-def: $vgpr5
	s_cbranch_execz .LBB37_18
.LBB37_20:                              ;   in Loop: Header=BB37_8 Depth=1
	s_wait_alu 0xfffe
	s_and_not1_b32 s4, s4, exec_lo
	s_and_b32 s5, s2, exec_lo
	s_wait_alu 0xfffe
	s_or_b32 s4, s4, s5
	s_wait_alu 0xfffe
	s_and_saveexec_b32 s5, s4
.LBB37_21:                              ;   in Loop: Header=BB37_8 Depth=1
	ds_store_b32 v16, v6 offset:8192
.LBB37_22:                              ;   in Loop: Header=BB37_8 Depth=1
	s_wait_alu 0xfffe
	s_or_b32 exec_lo, exec_lo, s5
	s_wait_loadcnt_dscnt 0x0
	s_barrier_signal -1
	s_barrier_wait -1
	global_inv scope:SCOPE_SE
	s_and_saveexec_b32 s5, s0
	s_cbranch_execz .LBB37_7
; %bb.23:                               ;   in Loop: Header=BB37_8 Depth=1
	global_load_b32 v4, v16, s[14:15]
	ds_load_b32 v6, v16 offset:8192
	v_mov_b32_e32 v17, v8
	s_mov_b32 s20, 0
	s_wait_loadcnt 0x0
	v_xor_b32_e32 v7, 0x80000000, v4
	v_dual_mov_b32 v5, v3 :: v_dual_mov_b32 v4, v2
	s_wait_dscnt 0x0
	s_delay_alu instid0(VALU_DEP_2)
	v_dual_mul_f32 v18, v6, v7 :: v_dual_mov_b32 v7, v1
	v_mov_b32_e32 v6, v0
.LBB37_24:                              ;   Parent Loop BB37_8 Depth=1
                                        ; =>  This Inner Loop Header: Depth=2
	flat_load_b32 v19, v[4:5]
	ds_load_b32 v20, v17
	v_add_co_u32 v6, vcc_lo, 0x100, v6
	s_wait_alu 0xfffd
	v_add_co_ci_u32_e64 v7, null, 0, v7, vcc_lo
	v_add_nc_u32_e32 v17, 0x400, v17
	s_delay_alu instid0(VALU_DEP_2)
	v_cmp_le_i64_e32 vcc_lo, s[10:11], v[6:7]
	s_or_b32 s20, vcc_lo, s20
	s_wait_loadcnt_dscnt 0x0
	v_fmac_f32_e32 v19, v18, v20
	flat_store_b32 v[4:5], v19
	v_add_co_u32 v4, s4, v4, s16
	s_wait_alu 0xf1ff
	v_add_co_ci_u32_e64 v5, null, s17, v5, s4
	s_and_not1_b32 exec_lo, exec_lo, s20
	s_cbranch_execnz .LBB37_24
	s_branch .LBB37_7
.LBB37_25:
	s_endpgm
	.section	.rodata,"a",@progbits
	.p2align	6, 0x0
	.amdhsa_kernel _ZN9rocsolver6v33100L23larf_right_kernel_smallILi256EflPKPfEEvT1_S5_T2_lS5_lPKT0_lS6_lS5_l
		.amdhsa_group_segment_fixed_size 8224
		.amdhsa_private_segment_fixed_size 0
		.amdhsa_kernarg_size 96
		.amdhsa_user_sgpr_count 2
		.amdhsa_user_sgpr_dispatch_ptr 0
		.amdhsa_user_sgpr_queue_ptr 0
		.amdhsa_user_sgpr_kernarg_segment_ptr 1
		.amdhsa_user_sgpr_dispatch_id 0
		.amdhsa_user_sgpr_private_segment_size 0
		.amdhsa_wavefront_size32 1
		.amdhsa_uses_dynamic_stack 0
		.amdhsa_enable_private_segment 0
		.amdhsa_system_sgpr_workgroup_id_x 1
		.amdhsa_system_sgpr_workgroup_id_y 1
		.amdhsa_system_sgpr_workgroup_id_z 0
		.amdhsa_system_sgpr_workgroup_info 0
		.amdhsa_system_vgpr_workitem_id 0
		.amdhsa_next_free_vgpr 23
		.amdhsa_next_free_sgpr 29
		.amdhsa_reserve_vcc 1
		.amdhsa_float_round_mode_32 0
		.amdhsa_float_round_mode_16_64 0
		.amdhsa_float_denorm_mode_32 3
		.amdhsa_float_denorm_mode_16_64 3
		.amdhsa_fp16_overflow 0
		.amdhsa_workgroup_processor_mode 1
		.amdhsa_memory_ordered 1
		.amdhsa_forward_progress 1
		.amdhsa_inst_pref_size 12
		.amdhsa_round_robin_scheduling 0
		.amdhsa_exception_fp_ieee_invalid_op 0
		.amdhsa_exception_fp_denorm_src 0
		.amdhsa_exception_fp_ieee_div_zero 0
		.amdhsa_exception_fp_ieee_overflow 0
		.amdhsa_exception_fp_ieee_underflow 0
		.amdhsa_exception_fp_ieee_inexact 0
		.amdhsa_exception_int_div_zero 0
	.end_amdhsa_kernel
	.section	.text._ZN9rocsolver6v33100L23larf_right_kernel_smallILi256EflPKPfEEvT1_S5_T2_lS5_lPKT0_lS6_lS5_l,"axG",@progbits,_ZN9rocsolver6v33100L23larf_right_kernel_smallILi256EflPKPfEEvT1_S5_T2_lS5_lPKT0_lS6_lS5_l,comdat
.Lfunc_end37:
	.size	_ZN9rocsolver6v33100L23larf_right_kernel_smallILi256EflPKPfEEvT1_S5_T2_lS5_lPKT0_lS6_lS5_l, .Lfunc_end37-_ZN9rocsolver6v33100L23larf_right_kernel_smallILi256EflPKPfEEvT1_S5_T2_lS5_lPKT0_lS6_lS5_l
                                        ; -- End function
	.set _ZN9rocsolver6v33100L23larf_right_kernel_smallILi256EflPKPfEEvT1_S5_T2_lS5_lPKT0_lS6_lS5_l.num_vgpr, 23
	.set _ZN9rocsolver6v33100L23larf_right_kernel_smallILi256EflPKPfEEvT1_S5_T2_lS5_lPKT0_lS6_lS5_l.num_agpr, 0
	.set _ZN9rocsolver6v33100L23larf_right_kernel_smallILi256EflPKPfEEvT1_S5_T2_lS5_lPKT0_lS6_lS5_l.numbered_sgpr, 29
	.set _ZN9rocsolver6v33100L23larf_right_kernel_smallILi256EflPKPfEEvT1_S5_T2_lS5_lPKT0_lS6_lS5_l.num_named_barrier, 0
	.set _ZN9rocsolver6v33100L23larf_right_kernel_smallILi256EflPKPfEEvT1_S5_T2_lS5_lPKT0_lS6_lS5_l.private_seg_size, 0
	.set _ZN9rocsolver6v33100L23larf_right_kernel_smallILi256EflPKPfEEvT1_S5_T2_lS5_lPKT0_lS6_lS5_l.uses_vcc, 1
	.set _ZN9rocsolver6v33100L23larf_right_kernel_smallILi256EflPKPfEEvT1_S5_T2_lS5_lPKT0_lS6_lS5_l.uses_flat_scratch, 0
	.set _ZN9rocsolver6v33100L23larf_right_kernel_smallILi256EflPKPfEEvT1_S5_T2_lS5_lPKT0_lS6_lS5_l.has_dyn_sized_stack, 0
	.set _ZN9rocsolver6v33100L23larf_right_kernel_smallILi256EflPKPfEEvT1_S5_T2_lS5_lPKT0_lS6_lS5_l.has_recursion, 0
	.set _ZN9rocsolver6v33100L23larf_right_kernel_smallILi256EflPKPfEEvT1_S5_T2_lS5_lPKT0_lS6_lS5_l.has_indirect_call, 0
	.section	.AMDGPU.csdata,"",@progbits
; Kernel info:
; codeLenInByte = 1464
; TotalNumSgprs: 31
; NumVgprs: 23
; ScratchSize: 0
; MemoryBound: 0
; FloatMode: 240
; IeeeMode: 1
; LDSByteSize: 8224 bytes/workgroup (compile time only)
; SGPRBlocks: 0
; VGPRBlocks: 2
; NumSGPRsForWavesPerEU: 31
; NumVGPRsForWavesPerEU: 23
; Occupancy: 16
; WaveLimiterHint : 1
; COMPUTE_PGM_RSRC2:SCRATCH_EN: 0
; COMPUTE_PGM_RSRC2:USER_SGPR: 2
; COMPUTE_PGM_RSRC2:TRAP_HANDLER: 0
; COMPUTE_PGM_RSRC2:TGID_X_EN: 1
; COMPUTE_PGM_RSRC2:TGID_Y_EN: 1
; COMPUTE_PGM_RSRC2:TGID_Z_EN: 0
; COMPUTE_PGM_RSRC2:TIDIG_COMP_CNT: 0
	.section	.text._ZN9rocsolver6v33100L23larf_right_kernel_smallILi512EflPKPfEEvT1_S5_T2_lS5_lPKT0_lS6_lS5_l,"axG",@progbits,_ZN9rocsolver6v33100L23larf_right_kernel_smallILi512EflPKPfEEvT1_S5_T2_lS5_lPKT0_lS6_lS5_l,comdat
	.globl	_ZN9rocsolver6v33100L23larf_right_kernel_smallILi512EflPKPfEEvT1_S5_T2_lS5_lPKT0_lS6_lS5_l ; -- Begin function _ZN9rocsolver6v33100L23larf_right_kernel_smallILi512EflPKPfEEvT1_S5_T2_lS5_lPKT0_lS6_lS5_l
	.p2align	8
	.type	_ZN9rocsolver6v33100L23larf_right_kernel_smallILi512EflPKPfEEvT1_S5_T2_lS5_lPKT0_lS6_lS5_l,@function
_ZN9rocsolver6v33100L23larf_right_kernel_smallILi512EflPKPfEEvT1_S5_T2_lS5_lPKT0_lS6_lS5_l: ; @_ZN9rocsolver6v33100L23larf_right_kernel_smallILi512EflPKPfEEvT1_S5_T2_lS5_lPKT0_lS6_lS5_l
; %bb.0:
	s_clause 0x3
	s_load_b64 s[6:7], s[0:1], 0x20
	s_load_b256 s[16:23], s[0:1], 0x30
	s_load_b256 s[8:15], s[0:1], 0x0
	s_load_b64 s[4:5], s[0:1], 0x50
	s_mov_b32 s2, ttmp9
	s_mov_b32 s3, 0
	s_delay_alu instid0(SALU_CYCLE_1)
	s_lshl_b64 s[26:27], s[2:3], 3
	s_wait_kmcnt 0x0
	v_cmp_gt_i64_e64 s24, s[6:7], 0
	s_add_nc_u64 s[0:1], s[20:21], s[26:27]
	s_and_b32 vcc_lo, exec_lo, s24
	s_mov_b64 s[24:25], 0
	s_cbranch_vccnz .LBB38_2
; %bb.1:
	s_sub_nc_u64 s[20:21], 1, s[10:11]
	s_delay_alu instid0(SALU_CYCLE_1)
	s_mul_u64 s[24:25], s[6:7], s[20:21]
.LBB38_2:
	s_load_b64 s[20:21], s[0:1], 0x0
	v_dual_mov_b32 v1, 0 :: v_dual_lshlrev_b32 v8, 2, v0
	s_delay_alu instid0(VALU_DEP_1)
	v_cmp_gt_i64_e64 s0, s[10:11], v[0:1]
	s_and_saveexec_b32 s28, s0
	s_cbranch_execz .LBB38_5
; %bb.3:
	s_add_nc_u64 s[12:13], s[12:13], s[26:27]
	v_mad_co_u64_u32 v[2:3], null, s6, v0, 0
	s_load_b64 s[12:13], s[12:13], 0x0
	s_lshl_b64 s[14:15], s[14:15], 2
	s_lshl_b64 s[24:25], s[24:25], 2
	v_lshlrev_b32_e32 v6, 2, v0
	v_mad_co_u64_u32 v[3:4], null, s7, v0, v[3:4]
	v_dual_mov_b32 v5, v1 :: v_dual_mov_b32 v4, v0
	s_lshl_b64 s[6:7], s[6:7], 11
	s_delay_alu instid0(VALU_DEP_2) | instskip(SKIP_2) | instid1(SALU_CYCLE_1)
	v_lshlrev_b64_e32 v[2:3], 2, v[2:3]
	s_wait_kmcnt 0x0
	s_add_nc_u64 s[12:13], s[12:13], s[14:15]
	s_add_nc_u64 s[12:13], s[12:13], s[24:25]
	s_delay_alu instid0(VALU_DEP_1) | instid1(SALU_CYCLE_1)
	v_add_co_u32 v2, vcc_lo, s12, v2
	s_delay_alu instid0(VALU_DEP_1)
	v_add_co_ci_u32_e64 v3, null, s13, v3, vcc_lo
	s_mov_b32 s12, 0
.LBB38_4:                               ; =>This Inner Loop Header: Depth=1
	flat_load_b32 v7, v[2:3]
	v_add_co_u32 v4, vcc_lo, 0x200, v4
	s_wait_alu 0xfffd
	v_add_co_ci_u32_e64 v5, null, 0, v5, vcc_lo
	s_wait_alu 0xfffe
	v_add_co_u32 v2, vcc_lo, v2, s6
	s_wait_alu 0xfffd
	v_add_co_ci_u32_e64 v3, null, s7, v3, vcc_lo
	v_cmp_le_i64_e64 s1, s[10:11], v[4:5]
	s_or_b32 s12, s1, s12
	s_wait_loadcnt_dscnt 0x0
	ds_store_b32 v6, v7
	v_add_nc_u32_e32 v6, 0x800, v6
	s_wait_alu 0xfffe
	s_and_not1_b32 exec_lo, exec_lo, s12
	s_cbranch_execnz .LBB38_4
.LBB38_5:
	s_or_b32 exec_lo, exec_lo, s28
	s_mov_b32 s6, ttmp7
	s_mov_b32 s7, 0
	s_wait_dscnt 0x0
	s_wait_alu 0xfffe
	v_cmp_le_i64_e64 s1, s[8:9], s[6:7]
	s_barrier_signal -1
	s_barrier_wait -1
	global_inv scope:SCOPE_SE
	s_and_b32 vcc_lo, exec_lo, s1
	s_wait_alu 0xfffe
	s_cbranch_vccnz .LBB38_25
; %bb.6:
	v_mad_co_u64_u32 v[2:3], null, s4, v0, 0
	s_mul_u64 s[12:13], s[18:19], s[2:3]
	s_lshl_b64 s[14:15], s[22:23], 2
	s_wait_alu 0xfffe
	s_lshl_b64 s[22:23], s[12:13], 2
	s_cmp_gt_i32 s10, 1
	s_wait_kmcnt 0x0
	s_add_nc_u64 s[12:13], s[20:21], s[14:15]
	s_cselect_b32 s18, -1, 0
	v_mad_co_u64_u32 v[3:4], null, s5, v0, v[3:4]
	s_lshl_b64 s[24:25], s[6:7], 2
	v_dual_mov_b32 v12, 0x2004 :: v_dual_and_b32 v5, 31, v0
	s_add_nc_u64 s[20:21], s[20:21], s[24:25]
	v_mbcnt_lo_u32_b32 v11, -1, 0
	s_add_nc_u64 s[14:15], s[20:21], s[14:15]
	v_lshlrev_b64_e32 v[2:3], 2, v[2:3]
	v_mul_lo_u32 v10, v0, s4
	v_cmp_gt_i32_e64 s1, s10, v0
	v_lshrrev_b32_e32 v9, 3, v0
	v_cmp_eq_u32_e64 s2, 0, v0
	v_dual_mov_b32 v13, 0x200c :: v_dual_mov_b32 v20, 0
	v_add_co_u32 v2, vcc_lo, s14, v2
	v_mov_b32_e32 v14, 0x2014
	v_mov_b32_e32 v15, 0x201c
	;; [unrolled: 1-line block ×3, first 2 shown]
	v_cmp_eq_u32_e64 s3, 0, v5
	v_lshl_or_b32 v17, v11, 2, 64
	s_wait_alu 0xfffd
	v_add_co_ci_u32_e64 v3, null, s15, v3, vcc_lo
	v_mov_b32_e32 v18, 0x202c
	v_mov_b32_e32 v19, 0x2034
	s_add_nc_u64 s[14:15], s[16:17], s[22:23]
	s_lshl_b32 s19, s4, 9
	s_lshl_b64 s[16:17], s[4:5], 11
	s_branch .LBB38_8
.LBB38_7:                               ;   in Loop: Header=BB38_8 Depth=1
	s_wait_alu 0xfffe
	s_or_b32 exec_lo, exec_lo, s5
	s_add_nc_u64 s[6:7], s[6:7], 64
	v_add_co_u32 v2, vcc_lo, 0x100, v2
	s_wait_alu 0xfffe
	v_cmp_ge_i64_e64 s4, s[6:7], s[8:9]
	s_wait_alu 0xfffd
	v_add_co_ci_u32_e64 v3, null, 0, v3, vcc_lo
	s_and_b32 vcc_lo, exec_lo, s4
	s_wait_alu 0xfffe
	s_cbranch_vccnz .LBB38_25
.LBB38_8:                               ; =>This Loop Header: Depth=1
                                        ;     Child Loop BB38_10 Depth 2
                                        ;     Child Loop BB38_24 Depth 2
	v_mov_b32_e32 v6, 0
	s_and_saveexec_b32 s20, s1
	s_cbranch_execz .LBB38_12
; %bb.9:                                ;   in Loop: Header=BB38_8 Depth=1
	v_dual_mov_b32 v6, 0 :: v_dual_mov_b32 v7, v8
	v_dual_mov_b32 v4, v10 :: v_dual_mov_b32 v21, v0
	s_lshl_b64 s[4:5], s[6:7], 2
	s_mov_b32 s21, 0
	s_wait_alu 0xfffe
	s_add_nc_u64 s[4:5], s[12:13], s[4:5]
.LBB38_10:                              ;   Parent Loop BB38_8 Depth=1
                                        ; =>  This Inner Loop Header: Depth=2
	v_ashrrev_i32_e32 v5, 31, v4
	v_add_nc_u32_e32 v21, 0x200, v21
	s_delay_alu instid0(VALU_DEP_2) | instskip(SKIP_2) | instid1(VALU_DEP_2)
	v_lshlrev_b64_e32 v[22:23], 2, v[4:5]
	v_add_nc_u32_e32 v4, s19, v4
	s_wait_alu 0xfffe
	v_add_co_u32 v22, vcc_lo, s4, v22
	s_wait_alu 0xfffd
	s_delay_alu instid0(VALU_DEP_3)
	v_add_co_ci_u32_e64 v23, null, s5, v23, vcc_lo
	v_cmp_le_i32_e32 vcc_lo, s10, v21
	flat_load_b32 v5, v[22:23]
	ds_load_b32 v22, v7
	v_add_nc_u32_e32 v7, 0x800, v7
	s_or_b32 s21, vcc_lo, s21
	s_wait_loadcnt_dscnt 0x0
	v_fmac_f32_e32 v6, v22, v5
	s_and_not1_b32 exec_lo, exec_lo, s21
	s_cbranch_execnz .LBB38_10
; %bb.11:                               ;   in Loop: Header=BB38_8 Depth=1
	s_or_b32 exec_lo, exec_lo, s21
.LBB38_12:                              ;   in Loop: Header=BB38_8 Depth=1
	s_delay_alu instid0(SALU_CYCLE_1) | instskip(NEXT) | instid1(SALU_CYCLE_1)
	s_or_b32 exec_lo, exec_lo, s20
	s_and_b32 vcc_lo, exec_lo, s18
	s_wait_alu 0xfffe
	s_cbranch_vccz .LBB38_19
; %bb.13:                               ;   in Loop: Header=BB38_8 Depth=1
	v_cmp_ne_u32_e32 vcc_lo, 31, v11
	s_wait_alu 0xfffd
	v_add_co_ci_u32_e64 v4, null, 0, v11, vcc_lo
	v_cmp_gt_u32_e32 vcc_lo, 30, v11
	s_delay_alu instid0(VALU_DEP_2)
	v_lshlrev_b32_e32 v4, 2, v4
	s_wait_alu 0xfffd
	v_cndmask_b32_e64 v5, 0, 2, vcc_lo
	v_cmp_gt_u32_e32 vcc_lo, 28, v11
	ds_bpermute_b32 v4, v4, v6
	v_add_lshl_u32 v5, v5, v11, 2
	s_wait_alu 0xfffd
	v_cndmask_b32_e64 v7, 0, 4, vcc_lo
	v_cmp_gt_u32_e32 vcc_lo, 24, v11
	s_delay_alu instid0(VALU_DEP_2)
	v_add_lshl_u32 v7, v7, v11, 2
	s_wait_dscnt 0x0
	v_add_f32_e32 v4, v6, v4
	ds_bpermute_b32 v5, v5, v4
	s_wait_dscnt 0x0
	v_add_f32_e32 v4, v4, v5
	ds_bpermute_b32 v5, v7, v4
	s_wait_alu 0xfffd
	v_cndmask_b32_e64 v7, 0, 8, vcc_lo
	s_wait_dscnt 0x0
	v_add_f32_e32 v4, v4, v5
	s_delay_alu instid0(VALU_DEP_2)
	v_add_lshl_u32 v5, v7, v11, 2
	ds_bpermute_b32 v5, v5, v4
	s_wait_dscnt 0x0
	v_add_f32_e32 v4, v4, v5
	ds_bpermute_b32 v5, v17, v4
	s_wait_dscnt 0x0
	v_add_f32_e32 v4, v4, v5
	s_and_saveexec_b32 s4, s3
; %bb.14:                               ;   in Loop: Header=BB38_8 Depth=1
	ds_store_b32 v9, v4 offset:8192
; %bb.15:                               ;   in Loop: Header=BB38_8 Depth=1
	s_wait_alu 0xfffe
	s_or_b32 exec_lo, exec_lo, s4
	s_mov_b32 s5, 0
	s_mov_b32 s4, 0
	s_wait_loadcnt_dscnt 0x0
	s_barrier_signal -1
	s_barrier_wait -1
	global_inv scope:SCOPE_SE
                                        ; implicit-def: $vgpr5
	s_and_saveexec_b32 s20, s2
	s_delay_alu instid0(SALU_CYCLE_1)
	s_xor_b32 s20, exec_lo, s20
	s_cbranch_execz .LBB38_17
; %bb.16:                               ;   in Loop: Header=BB38_8 Depth=1
	ds_load_2addr_b32 v[21:22], v12 offset1:1
	ds_load_2addr_b32 v[23:24], v13 offset1:1
	;; [unrolled: 1-line block ×4, first 2 shown]
	s_mov_b32 s4, exec_lo
	s_wait_dscnt 0x3
	v_add_f32_e32 v4, v4, v21
	s_delay_alu instid0(VALU_DEP_1) | instskip(SKIP_3) | instid1(VALU_DEP_1)
	v_add_f32_e32 v4, v4, v22
	ds_load_2addr_b32 v[21:22], v18 offset1:1
	s_wait_dscnt 0x3
	v_add_f32_e32 v4, v4, v23
	v_add_f32_e32 v4, v4, v24
	s_wait_dscnt 0x2
	s_delay_alu instid0(VALU_DEP_1)
	v_add_f32_e32 v7, v4, v25
	ds_load_2addr_b32 v[4:5], v16 offset1:1
	ds_load_2addr_b32 v[23:24], v19 offset1:1
	ds_load_b32 v25, v20 offset:8252
	v_add_f32_e32 v7, v7, v26
	s_wait_dscnt 0x4
	s_delay_alu instid0(VALU_DEP_1) | instskip(NEXT) | instid1(VALU_DEP_1)
	v_add_f32_e32 v7, v7, v27
	v_add_f32_e32 v7, v7, v28
	s_wait_dscnt 0x2
	s_delay_alu instid0(VALU_DEP_1) | instskip(NEXT) | instid1(VALU_DEP_1)
	v_add_f32_e32 v4, v7, v4
	v_add_f32_e32 v4, v4, v5
	s_delay_alu instid0(VALU_DEP_1) | instskip(NEXT) | instid1(VALU_DEP_1)
	v_add_f32_e32 v4, v4, v21
	v_add_f32_e32 v4, v4, v22
	s_wait_dscnt 0x1
	s_delay_alu instid0(VALU_DEP_1) | instskip(NEXT) | instid1(VALU_DEP_1)
	v_add_f32_e32 v4, v4, v23
	v_add_f32_e32 v4, v4, v24
	s_wait_dscnt 0x0
	s_delay_alu instid0(VALU_DEP_1)
	v_add_f32_e32 v5, v4, v25
.LBB38_17:                              ;   in Loop: Header=BB38_8 Depth=1
	s_or_b32 exec_lo, exec_lo, s20
	s_wait_alu 0xfffe
	s_and_b32 vcc_lo, exec_lo, s5
	s_wait_alu 0xfffe
	s_cbranch_vccnz .LBB38_20
.LBB38_18:                              ;   in Loop: Header=BB38_8 Depth=1
	v_mov_b32_e32 v6, v5
	s_wait_alu 0xfffe
	s_and_saveexec_b32 s5, s4
	s_cbranch_execnz .LBB38_21
	s_branch .LBB38_22
.LBB38_19:                              ;   in Loop: Header=BB38_8 Depth=1
	s_mov_b32 s4, 0
                                        ; implicit-def: $vgpr5
	s_cbranch_execz .LBB38_18
.LBB38_20:                              ;   in Loop: Header=BB38_8 Depth=1
	s_wait_alu 0xfffe
	s_and_not1_b32 s4, s4, exec_lo
	s_and_b32 s5, s2, exec_lo
	s_wait_alu 0xfffe
	s_or_b32 s4, s4, s5
	s_wait_alu 0xfffe
	s_and_saveexec_b32 s5, s4
.LBB38_21:                              ;   in Loop: Header=BB38_8 Depth=1
	ds_store_b32 v20, v6 offset:8192
.LBB38_22:                              ;   in Loop: Header=BB38_8 Depth=1
	s_wait_alu 0xfffe
	s_or_b32 exec_lo, exec_lo, s5
	s_wait_loadcnt_dscnt 0x0
	s_barrier_signal -1
	s_barrier_wait -1
	global_inv scope:SCOPE_SE
	s_and_saveexec_b32 s5, s0
	s_cbranch_execz .LBB38_7
; %bb.23:                               ;   in Loop: Header=BB38_8 Depth=1
	global_load_b32 v4, v20, s[14:15]
	ds_load_b32 v6, v20 offset:8192
	v_mov_b32_e32 v21, v8
	s_mov_b32 s20, 0
	s_wait_loadcnt 0x0
	v_xor_b32_e32 v7, 0x80000000, v4
	v_dual_mov_b32 v5, v3 :: v_dual_mov_b32 v4, v2
	s_wait_dscnt 0x0
	s_delay_alu instid0(VALU_DEP_2)
	v_dual_mul_f32 v22, v6, v7 :: v_dual_mov_b32 v7, v1
	v_mov_b32_e32 v6, v0
.LBB38_24:                              ;   Parent Loop BB38_8 Depth=1
                                        ; =>  This Inner Loop Header: Depth=2
	flat_load_b32 v23, v[4:5]
	ds_load_b32 v24, v21
	v_add_co_u32 v6, vcc_lo, 0x200, v6
	s_wait_alu 0xfffd
	v_add_co_ci_u32_e64 v7, null, 0, v7, vcc_lo
	v_add_nc_u32_e32 v21, 0x800, v21
	s_delay_alu instid0(VALU_DEP_2)
	v_cmp_le_i64_e32 vcc_lo, s[10:11], v[6:7]
	s_or_b32 s20, vcc_lo, s20
	s_wait_loadcnt_dscnt 0x0
	v_fmac_f32_e32 v23, v22, v24
	flat_store_b32 v[4:5], v23
	v_add_co_u32 v4, s4, v4, s16
	s_wait_alu 0xf1ff
	v_add_co_ci_u32_e64 v5, null, s17, v5, s4
	s_and_not1_b32 exec_lo, exec_lo, s20
	s_cbranch_execnz .LBB38_24
	s_branch .LBB38_7
.LBB38_25:
	s_endpgm
	.section	.rodata,"a",@progbits
	.p2align	6, 0x0
	.amdhsa_kernel _ZN9rocsolver6v33100L23larf_right_kernel_smallILi512EflPKPfEEvT1_S5_T2_lS5_lPKT0_lS6_lS5_l
		.amdhsa_group_segment_fixed_size 8256
		.amdhsa_private_segment_fixed_size 0
		.amdhsa_kernarg_size 96
		.amdhsa_user_sgpr_count 2
		.amdhsa_user_sgpr_dispatch_ptr 0
		.amdhsa_user_sgpr_queue_ptr 0
		.amdhsa_user_sgpr_kernarg_segment_ptr 1
		.amdhsa_user_sgpr_dispatch_id 0
		.amdhsa_user_sgpr_private_segment_size 0
		.amdhsa_wavefront_size32 1
		.amdhsa_uses_dynamic_stack 0
		.amdhsa_enable_private_segment 0
		.amdhsa_system_sgpr_workgroup_id_x 1
		.amdhsa_system_sgpr_workgroup_id_y 1
		.amdhsa_system_sgpr_workgroup_id_z 0
		.amdhsa_system_sgpr_workgroup_info 0
		.amdhsa_system_vgpr_workitem_id 0
		.amdhsa_next_free_vgpr 29
		.amdhsa_next_free_sgpr 29
		.amdhsa_reserve_vcc 1
		.amdhsa_float_round_mode_32 0
		.amdhsa_float_round_mode_16_64 0
		.amdhsa_float_denorm_mode_32 3
		.amdhsa_float_denorm_mode_16_64 3
		.amdhsa_fp16_overflow 0
		.amdhsa_workgroup_processor_mode 1
		.amdhsa_memory_ordered 1
		.amdhsa_forward_progress 1
		.amdhsa_inst_pref_size 13
		.amdhsa_round_robin_scheduling 0
		.amdhsa_exception_fp_ieee_invalid_op 0
		.amdhsa_exception_fp_denorm_src 0
		.amdhsa_exception_fp_ieee_div_zero 0
		.amdhsa_exception_fp_ieee_overflow 0
		.amdhsa_exception_fp_ieee_underflow 0
		.amdhsa_exception_fp_ieee_inexact 0
		.amdhsa_exception_int_div_zero 0
	.end_amdhsa_kernel
	.section	.text._ZN9rocsolver6v33100L23larf_right_kernel_smallILi512EflPKPfEEvT1_S5_T2_lS5_lPKT0_lS6_lS5_l,"axG",@progbits,_ZN9rocsolver6v33100L23larf_right_kernel_smallILi512EflPKPfEEvT1_S5_T2_lS5_lPKT0_lS6_lS5_l,comdat
.Lfunc_end38:
	.size	_ZN9rocsolver6v33100L23larf_right_kernel_smallILi512EflPKPfEEvT1_S5_T2_lS5_lPKT0_lS6_lS5_l, .Lfunc_end38-_ZN9rocsolver6v33100L23larf_right_kernel_smallILi512EflPKPfEEvT1_S5_T2_lS5_lPKT0_lS6_lS5_l
                                        ; -- End function
	.set _ZN9rocsolver6v33100L23larf_right_kernel_smallILi512EflPKPfEEvT1_S5_T2_lS5_lPKT0_lS6_lS5_l.num_vgpr, 29
	.set _ZN9rocsolver6v33100L23larf_right_kernel_smallILi512EflPKPfEEvT1_S5_T2_lS5_lPKT0_lS6_lS5_l.num_agpr, 0
	.set _ZN9rocsolver6v33100L23larf_right_kernel_smallILi512EflPKPfEEvT1_S5_T2_lS5_lPKT0_lS6_lS5_l.numbered_sgpr, 29
	.set _ZN9rocsolver6v33100L23larf_right_kernel_smallILi512EflPKPfEEvT1_S5_T2_lS5_lPKT0_lS6_lS5_l.num_named_barrier, 0
	.set _ZN9rocsolver6v33100L23larf_right_kernel_smallILi512EflPKPfEEvT1_S5_T2_lS5_lPKT0_lS6_lS5_l.private_seg_size, 0
	.set _ZN9rocsolver6v33100L23larf_right_kernel_smallILi512EflPKPfEEvT1_S5_T2_lS5_lPKT0_lS6_lS5_l.uses_vcc, 1
	.set _ZN9rocsolver6v33100L23larf_right_kernel_smallILi512EflPKPfEEvT1_S5_T2_lS5_lPKT0_lS6_lS5_l.uses_flat_scratch, 0
	.set _ZN9rocsolver6v33100L23larf_right_kernel_smallILi512EflPKPfEEvT1_S5_T2_lS5_lPKT0_lS6_lS5_l.has_dyn_sized_stack, 0
	.set _ZN9rocsolver6v33100L23larf_right_kernel_smallILi512EflPKPfEEvT1_S5_T2_lS5_lPKT0_lS6_lS5_l.has_recursion, 0
	.set _ZN9rocsolver6v33100L23larf_right_kernel_smallILi512EflPKPfEEvT1_S5_T2_lS5_lPKT0_lS6_lS5_l.has_indirect_call, 0
	.section	.AMDGPU.csdata,"",@progbits
; Kernel info:
; codeLenInByte = 1588
; TotalNumSgprs: 31
; NumVgprs: 29
; ScratchSize: 0
; MemoryBound: 0
; FloatMode: 240
; IeeeMode: 1
; LDSByteSize: 8256 bytes/workgroup (compile time only)
; SGPRBlocks: 0
; VGPRBlocks: 3
; NumSGPRsForWavesPerEU: 31
; NumVGPRsForWavesPerEU: 29
; Occupancy: 16
; WaveLimiterHint : 1
; COMPUTE_PGM_RSRC2:SCRATCH_EN: 0
; COMPUTE_PGM_RSRC2:USER_SGPR: 2
; COMPUTE_PGM_RSRC2:TRAP_HANDLER: 0
; COMPUTE_PGM_RSRC2:TGID_X_EN: 1
; COMPUTE_PGM_RSRC2:TGID_Y_EN: 1
; COMPUTE_PGM_RSRC2:TGID_Z_EN: 0
; COMPUTE_PGM_RSRC2:TIDIG_COMP_CNT: 0
	.section	.text._ZN9rocsolver6v33100L23larf_right_kernel_smallILi1024EflPKPfEEvT1_S5_T2_lS5_lPKT0_lS6_lS5_l,"axG",@progbits,_ZN9rocsolver6v33100L23larf_right_kernel_smallILi1024EflPKPfEEvT1_S5_T2_lS5_lPKT0_lS6_lS5_l,comdat
	.globl	_ZN9rocsolver6v33100L23larf_right_kernel_smallILi1024EflPKPfEEvT1_S5_T2_lS5_lPKT0_lS6_lS5_l ; -- Begin function _ZN9rocsolver6v33100L23larf_right_kernel_smallILi1024EflPKPfEEvT1_S5_T2_lS5_lPKT0_lS6_lS5_l
	.p2align	8
	.type	_ZN9rocsolver6v33100L23larf_right_kernel_smallILi1024EflPKPfEEvT1_S5_T2_lS5_lPKT0_lS6_lS5_l,@function
_ZN9rocsolver6v33100L23larf_right_kernel_smallILi1024EflPKPfEEvT1_S5_T2_lS5_lPKT0_lS6_lS5_l: ; @_ZN9rocsolver6v33100L23larf_right_kernel_smallILi1024EflPKPfEEvT1_S5_T2_lS5_lPKT0_lS6_lS5_l
; %bb.0:
	s_clause 0x3
	s_load_b64 s[6:7], s[0:1], 0x20
	s_load_b256 s[16:23], s[0:1], 0x30
	s_load_b256 s[8:15], s[0:1], 0x0
	s_load_b64 s[4:5], s[0:1], 0x50
	s_mov_b32 s2, ttmp9
	s_mov_b32 s3, 0
	s_delay_alu instid0(SALU_CYCLE_1)
	s_lshl_b64 s[26:27], s[2:3], 3
	s_wait_kmcnt 0x0
	v_cmp_gt_i64_e64 s24, s[6:7], 0
	s_add_nc_u64 s[0:1], s[20:21], s[26:27]
	s_and_b32 vcc_lo, exec_lo, s24
	s_mov_b64 s[24:25], 0
	s_cbranch_vccnz .LBB39_2
; %bb.1:
	s_sub_nc_u64 s[20:21], 1, s[10:11]
	s_delay_alu instid0(SALU_CYCLE_1)
	s_mul_u64 s[24:25], s[6:7], s[20:21]
.LBB39_2:
	s_load_b64 s[20:21], s[0:1], 0x0
	v_dual_mov_b32 v1, 0 :: v_dual_lshlrev_b32 v8, 2, v0
	s_delay_alu instid0(VALU_DEP_1)
	v_cmp_gt_i64_e64 s0, s[10:11], v[0:1]
	s_and_saveexec_b32 s28, s0
	s_cbranch_execz .LBB39_5
; %bb.3:
	s_add_nc_u64 s[12:13], s[12:13], s[26:27]
	v_mad_co_u64_u32 v[2:3], null, s6, v0, 0
	s_load_b64 s[12:13], s[12:13], 0x0
	s_lshl_b64 s[14:15], s[14:15], 2
	s_lshl_b64 s[24:25], s[24:25], 2
	v_lshlrev_b32_e32 v6, 2, v0
	v_mad_co_u64_u32 v[3:4], null, s7, v0, v[3:4]
	v_dual_mov_b32 v5, v1 :: v_dual_mov_b32 v4, v0
	s_lshl_b64 s[6:7], s[6:7], 12
	s_delay_alu instid0(VALU_DEP_2) | instskip(SKIP_2) | instid1(SALU_CYCLE_1)
	v_lshlrev_b64_e32 v[2:3], 2, v[2:3]
	s_wait_kmcnt 0x0
	s_add_nc_u64 s[12:13], s[12:13], s[14:15]
	s_add_nc_u64 s[12:13], s[12:13], s[24:25]
	s_delay_alu instid0(VALU_DEP_1) | instid1(SALU_CYCLE_1)
	v_add_co_u32 v2, vcc_lo, s12, v2
	s_delay_alu instid0(VALU_DEP_1)
	v_add_co_ci_u32_e64 v3, null, s13, v3, vcc_lo
	s_mov_b32 s12, 0
.LBB39_4:                               ; =>This Inner Loop Header: Depth=1
	flat_load_b32 v7, v[2:3]
	v_add_co_u32 v4, vcc_lo, 0x400, v4
	s_wait_alu 0xfffd
	v_add_co_ci_u32_e64 v5, null, 0, v5, vcc_lo
	s_wait_alu 0xfffe
	v_add_co_u32 v2, vcc_lo, v2, s6
	s_wait_alu 0xfffd
	v_add_co_ci_u32_e64 v3, null, s7, v3, vcc_lo
	v_cmp_le_i64_e64 s1, s[10:11], v[4:5]
	s_or_b32 s12, s1, s12
	s_wait_loadcnt_dscnt 0x0
	ds_store_b32 v6, v7
	v_add_nc_u32_e32 v6, 0x1000, v6
	s_wait_alu 0xfffe
	s_and_not1_b32 exec_lo, exec_lo, s12
	s_cbranch_execnz .LBB39_4
.LBB39_5:
	s_or_b32 exec_lo, exec_lo, s28
	s_mov_b32 s6, ttmp7
	s_mov_b32 s7, 0
	s_wait_dscnt 0x0
	s_wait_alu 0xfffe
	v_cmp_le_i64_e64 s1, s[8:9], s[6:7]
	s_barrier_signal -1
	s_barrier_wait -1
	global_inv scope:SCOPE_SE
	s_and_b32 vcc_lo, exec_lo, s1
	s_wait_alu 0xfffe
	s_cbranch_vccnz .LBB39_25
; %bb.6:
	v_mad_co_u64_u32 v[2:3], null, s4, v0, 0
	s_mul_u64 s[12:13], s[18:19], s[2:3]
	s_lshl_b64 s[14:15], s[22:23], 2
	s_wait_alu 0xfffe
	s_lshl_b64 s[22:23], s[12:13], 2
	s_cmp_gt_i32 s10, 1
	s_wait_kmcnt 0x0
	s_add_nc_u64 s[12:13], s[20:21], s[14:15]
	s_cselect_b32 s18, -1, 0
	v_mad_co_u64_u32 v[3:4], null, s5, v0, v[3:4]
	s_lshl_b64 s[24:25], s[6:7], 2
	v_dual_mov_b32 v12, 0x2004 :: v_dual_and_b32 v5, 31, v0
	s_add_nc_u64 s[20:21], s[20:21], s[24:25]
	v_mbcnt_lo_u32_b32 v11, -1, 0
	s_add_nc_u64 s[14:15], s[20:21], s[14:15]
	v_lshlrev_b64_e32 v[2:3], 2, v[2:3]
	v_mul_lo_u32 v10, v0, s4
	v_cmp_gt_i32_e64 s1, s10, v0
	v_lshrrev_b32_e32 v9, 3, v0
	v_cmp_eq_u32_e64 s2, 0, v0
	v_dual_mov_b32 v13, 0x200c :: v_dual_mov_b32 v28, 0
	v_add_co_u32 v2, vcc_lo, s14, v2
	v_mov_b32_e32 v14, 0x2014
	v_mov_b32_e32 v15, 0x201c
	;; [unrolled: 1-line block ×3, first 2 shown]
	v_cmp_eq_u32_e64 s3, 0, v5
	v_lshl_or_b32 v17, v11, 2, 64
	s_wait_alu 0xfffd
	v_add_co_ci_u32_e64 v3, null, s15, v3, vcc_lo
	v_mov_b32_e32 v18, 0x202c
	v_mov_b32_e32 v19, 0x2034
	;; [unrolled: 1-line block ×10, first 2 shown]
	s_add_nc_u64 s[14:15], s[16:17], s[22:23]
	s_lshl_b32 s19, s4, 10
	s_lshl_b64 s[16:17], s[4:5], 12
	s_branch .LBB39_8
.LBB39_7:                               ;   in Loop: Header=BB39_8 Depth=1
	s_wait_alu 0xfffe
	s_or_b32 exec_lo, exec_lo, s5
	s_add_nc_u64 s[6:7], s[6:7], 64
	v_add_co_u32 v2, vcc_lo, 0x100, v2
	s_wait_alu 0xfffe
	v_cmp_ge_i64_e64 s4, s[6:7], s[8:9]
	s_wait_alu 0xfffd
	v_add_co_ci_u32_e64 v3, null, 0, v3, vcc_lo
	s_and_b32 vcc_lo, exec_lo, s4
	s_wait_alu 0xfffe
	s_cbranch_vccnz .LBB39_25
.LBB39_8:                               ; =>This Loop Header: Depth=1
                                        ;     Child Loop BB39_10 Depth 2
                                        ;     Child Loop BB39_24 Depth 2
	v_mov_b32_e32 v6, 0
	s_and_saveexec_b32 s20, s1
	s_cbranch_execz .LBB39_12
; %bb.9:                                ;   in Loop: Header=BB39_8 Depth=1
	v_dual_mov_b32 v6, 0 :: v_dual_mov_b32 v7, v8
	v_dual_mov_b32 v4, v10 :: v_dual_mov_b32 v29, v0
	s_lshl_b64 s[4:5], s[6:7], 2
	s_mov_b32 s21, 0
	s_wait_alu 0xfffe
	s_add_nc_u64 s[4:5], s[12:13], s[4:5]
.LBB39_10:                              ;   Parent Loop BB39_8 Depth=1
                                        ; =>  This Inner Loop Header: Depth=2
	v_ashrrev_i32_e32 v5, 31, v4
	v_add_nc_u32_e32 v29, 0x400, v29
	s_delay_alu instid0(VALU_DEP_2) | instskip(SKIP_2) | instid1(VALU_DEP_2)
	v_lshlrev_b64_e32 v[30:31], 2, v[4:5]
	v_add_nc_u32_e32 v4, s19, v4
	s_wait_alu 0xfffe
	v_add_co_u32 v30, vcc_lo, s4, v30
	s_wait_alu 0xfffd
	s_delay_alu instid0(VALU_DEP_3)
	v_add_co_ci_u32_e64 v31, null, s5, v31, vcc_lo
	v_cmp_le_i32_e32 vcc_lo, s10, v29
	flat_load_b32 v5, v[30:31]
	ds_load_b32 v30, v7
	v_add_nc_u32_e32 v7, 0x1000, v7
	s_or_b32 s21, vcc_lo, s21
	s_wait_loadcnt_dscnt 0x0
	v_fmac_f32_e32 v6, v30, v5
	s_and_not1_b32 exec_lo, exec_lo, s21
	s_cbranch_execnz .LBB39_10
; %bb.11:                               ;   in Loop: Header=BB39_8 Depth=1
	s_or_b32 exec_lo, exec_lo, s21
.LBB39_12:                              ;   in Loop: Header=BB39_8 Depth=1
	s_delay_alu instid0(SALU_CYCLE_1) | instskip(NEXT) | instid1(SALU_CYCLE_1)
	s_or_b32 exec_lo, exec_lo, s20
	s_and_b32 vcc_lo, exec_lo, s18
	s_wait_alu 0xfffe
	s_cbranch_vccz .LBB39_19
; %bb.13:                               ;   in Loop: Header=BB39_8 Depth=1
	v_cmp_ne_u32_e32 vcc_lo, 31, v11
	s_wait_alu 0xfffd
	v_add_co_ci_u32_e64 v4, null, 0, v11, vcc_lo
	v_cmp_gt_u32_e32 vcc_lo, 30, v11
	s_delay_alu instid0(VALU_DEP_2)
	v_lshlrev_b32_e32 v4, 2, v4
	s_wait_alu 0xfffd
	v_cndmask_b32_e64 v5, 0, 2, vcc_lo
	v_cmp_gt_u32_e32 vcc_lo, 28, v11
	ds_bpermute_b32 v4, v4, v6
	v_add_lshl_u32 v5, v5, v11, 2
	s_wait_alu 0xfffd
	v_cndmask_b32_e64 v7, 0, 4, vcc_lo
	v_cmp_gt_u32_e32 vcc_lo, 24, v11
	s_delay_alu instid0(VALU_DEP_2)
	v_add_lshl_u32 v7, v7, v11, 2
	s_wait_dscnt 0x0
	v_add_f32_e32 v4, v6, v4
	ds_bpermute_b32 v5, v5, v4
	s_wait_dscnt 0x0
	v_add_f32_e32 v4, v4, v5
	ds_bpermute_b32 v5, v7, v4
	s_wait_alu 0xfffd
	v_cndmask_b32_e64 v7, 0, 8, vcc_lo
	s_wait_dscnt 0x0
	v_add_f32_e32 v4, v4, v5
	s_delay_alu instid0(VALU_DEP_2)
	v_add_lshl_u32 v5, v7, v11, 2
	ds_bpermute_b32 v5, v5, v4
	s_wait_dscnt 0x0
	v_add_f32_e32 v4, v4, v5
	ds_bpermute_b32 v5, v17, v4
	s_wait_dscnt 0x0
	v_add_f32_e32 v4, v4, v5
	s_and_saveexec_b32 s4, s3
; %bb.14:                               ;   in Loop: Header=BB39_8 Depth=1
	ds_store_b32 v9, v4 offset:8192
; %bb.15:                               ;   in Loop: Header=BB39_8 Depth=1
	s_wait_alu 0xfffe
	s_or_b32 exec_lo, exec_lo, s4
	s_mov_b32 s5, 0
	s_mov_b32 s4, 0
	s_wait_loadcnt_dscnt 0x0
	s_barrier_signal -1
	s_barrier_wait -1
	global_inv scope:SCOPE_SE
                                        ; implicit-def: $vgpr5
	s_and_saveexec_b32 s20, s2
	s_delay_alu instid0(SALU_CYCLE_1)
	s_xor_b32 s20, exec_lo, s20
	s_cbranch_execz .LBB39_17
; %bb.16:                               ;   in Loop: Header=BB39_8 Depth=1
	ds_load_2addr_b32 v[29:30], v12 offset1:1
	ds_load_2addr_b32 v[31:32], v13 offset1:1
	;; [unrolled: 1-line block ×4, first 2 shown]
	s_mov_b32 s4, exec_lo
	s_wait_dscnt 0x3
	v_add_f32_e32 v4, v4, v29
	s_delay_alu instid0(VALU_DEP_1) | instskip(SKIP_3) | instid1(VALU_DEP_1)
	v_add_f32_e32 v4, v4, v30
	ds_load_2addr_b32 v[29:30], v18 offset1:1
	s_wait_dscnt 0x3
	v_add_f32_e32 v4, v4, v31
	v_add_f32_e32 v7, v4, v32
	ds_load_2addr_b32 v[4:5], v16 offset1:1
	s_wait_dscnt 0x3
	v_add_f32_e32 v7, v7, v33
	s_delay_alu instid0(VALU_DEP_1) | instskip(SKIP_4) | instid1(VALU_DEP_1)
	v_add_f32_e32 v7, v7, v34
	ds_load_2addr_b32 v[31:32], v19 offset1:1
	ds_load_2addr_b32 v[33:34], v20 offset1:1
	s_wait_dscnt 0x4
	v_add_f32_e32 v7, v7, v35
	v_add_f32_e32 v7, v7, v36
	s_wait_dscnt 0x2
	s_delay_alu instid0(VALU_DEP_1) | instskip(NEXT) | instid1(VALU_DEP_1)
	v_add_f32_e32 v4, v7, v4
	v_add_f32_e32 v4, v4, v5
	s_delay_alu instid0(VALU_DEP_1) | instskip(NEXT) | instid1(VALU_DEP_1)
	v_add_f32_e32 v4, v4, v29
	v_add_f32_e32 v7, v4, v30
	ds_load_2addr_b32 v[4:5], v21 offset1:1
	ds_load_2addr_b32 v[29:30], v22 offset1:1
	s_wait_dscnt 0x3
	v_add_f32_e32 v7, v7, v31
	s_delay_alu instid0(VALU_DEP_1) | instskip(SKIP_1) | instid1(VALU_DEP_1)
	v_add_f32_e32 v7, v7, v32
	s_wait_dscnt 0x2
	v_add_f32_e32 v7, v7, v33
	s_delay_alu instid0(VALU_DEP_1) | instskip(SKIP_4) | instid1(VALU_DEP_1)
	v_add_f32_e32 v7, v7, v34
	ds_load_2addr_b32 v[31:32], v23 offset1:1
	ds_load_2addr_b32 v[33:34], v24 offset1:1
	s_wait_dscnt 0x3
	v_add_f32_e32 v4, v7, v4
	v_add_f32_e32 v4, v4, v5
	s_wait_dscnt 0x2
	s_delay_alu instid0(VALU_DEP_1) | instskip(NEXT) | instid1(VALU_DEP_1)
	v_add_f32_e32 v4, v4, v29
	v_add_f32_e32 v4, v4, v30
	ds_load_2addr_b32 v[29:30], v26 offset1:1
	s_wait_dscnt 0x2
	v_add_f32_e32 v7, v4, v31
	ds_load_2addr_b32 v[4:5], v25 offset1:1
	v_add_f32_e32 v7, v7, v32
	s_wait_dscnt 0x2
	s_delay_alu instid0(VALU_DEP_1) | instskip(SKIP_4) | instid1(VALU_DEP_1)
	v_add_f32_e32 v7, v7, v33
	ds_load_2addr_b32 v[31:32], v27 offset1:1
	ds_load_b32 v33, v28 offset:8316
	v_add_f32_e32 v7, v7, v34
	s_wait_dscnt 0x2
	v_add_f32_e32 v4, v7, v4
	s_delay_alu instid0(VALU_DEP_1) | instskip(NEXT) | instid1(VALU_DEP_1)
	v_add_f32_e32 v4, v4, v5
	v_add_f32_e32 v4, v4, v29
	s_delay_alu instid0(VALU_DEP_1) | instskip(SKIP_1) | instid1(VALU_DEP_1)
	v_add_f32_e32 v4, v4, v30
	s_wait_dscnt 0x1
	v_add_f32_e32 v4, v4, v31
	s_delay_alu instid0(VALU_DEP_1) | instskip(SKIP_1) | instid1(VALU_DEP_1)
	v_add_f32_e32 v4, v4, v32
	s_wait_dscnt 0x0
	v_add_f32_e32 v5, v4, v33
.LBB39_17:                              ;   in Loop: Header=BB39_8 Depth=1
	s_or_b32 exec_lo, exec_lo, s20
	s_wait_alu 0xfffe
	s_and_b32 vcc_lo, exec_lo, s5
	s_wait_alu 0xfffe
	s_cbranch_vccnz .LBB39_20
.LBB39_18:                              ;   in Loop: Header=BB39_8 Depth=1
	v_mov_b32_e32 v6, v5
	s_wait_alu 0xfffe
	s_and_saveexec_b32 s5, s4
	s_cbranch_execnz .LBB39_21
	s_branch .LBB39_22
.LBB39_19:                              ;   in Loop: Header=BB39_8 Depth=1
	s_mov_b32 s4, 0
                                        ; implicit-def: $vgpr5
	s_cbranch_execz .LBB39_18
.LBB39_20:                              ;   in Loop: Header=BB39_8 Depth=1
	s_wait_alu 0xfffe
	s_and_not1_b32 s4, s4, exec_lo
	s_and_b32 s5, s2, exec_lo
	s_wait_alu 0xfffe
	s_or_b32 s4, s4, s5
	s_wait_alu 0xfffe
	s_and_saveexec_b32 s5, s4
.LBB39_21:                              ;   in Loop: Header=BB39_8 Depth=1
	ds_store_b32 v28, v6 offset:8192
.LBB39_22:                              ;   in Loop: Header=BB39_8 Depth=1
	s_wait_alu 0xfffe
	s_or_b32 exec_lo, exec_lo, s5
	s_wait_loadcnt_dscnt 0x0
	s_barrier_signal -1
	s_barrier_wait -1
	global_inv scope:SCOPE_SE
	s_and_saveexec_b32 s5, s0
	s_cbranch_execz .LBB39_7
; %bb.23:                               ;   in Loop: Header=BB39_8 Depth=1
	global_load_b32 v4, v28, s[14:15]
	ds_load_b32 v6, v28 offset:8192
	v_mov_b32_e32 v29, v8
	s_mov_b32 s20, 0
	s_wait_loadcnt 0x0
	v_xor_b32_e32 v7, 0x80000000, v4
	v_dual_mov_b32 v5, v3 :: v_dual_mov_b32 v4, v2
	s_wait_dscnt 0x0
	s_delay_alu instid0(VALU_DEP_2)
	v_dual_mul_f32 v30, v6, v7 :: v_dual_mov_b32 v7, v1
	v_mov_b32_e32 v6, v0
.LBB39_24:                              ;   Parent Loop BB39_8 Depth=1
                                        ; =>  This Inner Loop Header: Depth=2
	flat_load_b32 v31, v[4:5]
	ds_load_b32 v32, v29
	v_add_co_u32 v6, vcc_lo, 0x400, v6
	s_wait_alu 0xfffd
	v_add_co_ci_u32_e64 v7, null, 0, v7, vcc_lo
	v_add_nc_u32_e32 v29, 0x1000, v29
	s_delay_alu instid0(VALU_DEP_2)
	v_cmp_le_i64_e32 vcc_lo, s[10:11], v[6:7]
	s_or_b32 s20, vcc_lo, s20
	s_wait_loadcnt_dscnt 0x0
	v_fmac_f32_e32 v31, v30, v32
	flat_store_b32 v[4:5], v31
	v_add_co_u32 v4, s4, v4, s16
	s_wait_alu 0xf1ff
	v_add_co_ci_u32_e64 v5, null, s17, v5, s4
	s_and_not1_b32 exec_lo, exec_lo, s20
	s_cbranch_execnz .LBB39_24
	s_branch .LBB39_7
.LBB39_25:
	s_endpgm
	.section	.rodata,"a",@progbits
	.p2align	6, 0x0
	.amdhsa_kernel _ZN9rocsolver6v33100L23larf_right_kernel_smallILi1024EflPKPfEEvT1_S5_T2_lS5_lPKT0_lS6_lS5_l
		.amdhsa_group_segment_fixed_size 8320
		.amdhsa_private_segment_fixed_size 0
		.amdhsa_kernarg_size 96
		.amdhsa_user_sgpr_count 2
		.amdhsa_user_sgpr_dispatch_ptr 0
		.amdhsa_user_sgpr_queue_ptr 0
		.amdhsa_user_sgpr_kernarg_segment_ptr 1
		.amdhsa_user_sgpr_dispatch_id 0
		.amdhsa_user_sgpr_private_segment_size 0
		.amdhsa_wavefront_size32 1
		.amdhsa_uses_dynamic_stack 0
		.amdhsa_enable_private_segment 0
		.amdhsa_system_sgpr_workgroup_id_x 1
		.amdhsa_system_sgpr_workgroup_id_y 1
		.amdhsa_system_sgpr_workgroup_id_z 0
		.amdhsa_system_sgpr_workgroup_info 0
		.amdhsa_system_vgpr_workitem_id 0
		.amdhsa_next_free_vgpr 37
		.amdhsa_next_free_sgpr 29
		.amdhsa_reserve_vcc 1
		.amdhsa_float_round_mode_32 0
		.amdhsa_float_round_mode_16_64 0
		.amdhsa_float_denorm_mode_32 3
		.amdhsa_float_denorm_mode_16_64 3
		.amdhsa_fp16_overflow 0
		.amdhsa_workgroup_processor_mode 1
		.amdhsa_memory_ordered 1
		.amdhsa_forward_progress 1
		.amdhsa_inst_pref_size 15
		.amdhsa_round_robin_scheduling 0
		.amdhsa_exception_fp_ieee_invalid_op 0
		.amdhsa_exception_fp_denorm_src 0
		.amdhsa_exception_fp_ieee_div_zero 0
		.amdhsa_exception_fp_ieee_overflow 0
		.amdhsa_exception_fp_ieee_underflow 0
		.amdhsa_exception_fp_ieee_inexact 0
		.amdhsa_exception_int_div_zero 0
	.end_amdhsa_kernel
	.section	.text._ZN9rocsolver6v33100L23larf_right_kernel_smallILi1024EflPKPfEEvT1_S5_T2_lS5_lPKT0_lS6_lS5_l,"axG",@progbits,_ZN9rocsolver6v33100L23larf_right_kernel_smallILi1024EflPKPfEEvT1_S5_T2_lS5_lPKT0_lS6_lS5_l,comdat
.Lfunc_end39:
	.size	_ZN9rocsolver6v33100L23larf_right_kernel_smallILi1024EflPKPfEEvT1_S5_T2_lS5_lPKT0_lS6_lS5_l, .Lfunc_end39-_ZN9rocsolver6v33100L23larf_right_kernel_smallILi1024EflPKPfEEvT1_S5_T2_lS5_lPKT0_lS6_lS5_l
                                        ; -- End function
	.set _ZN9rocsolver6v33100L23larf_right_kernel_smallILi1024EflPKPfEEvT1_S5_T2_lS5_lPKT0_lS6_lS5_l.num_vgpr, 37
	.set _ZN9rocsolver6v33100L23larf_right_kernel_smallILi1024EflPKPfEEvT1_S5_T2_lS5_lPKT0_lS6_lS5_l.num_agpr, 0
	.set _ZN9rocsolver6v33100L23larf_right_kernel_smallILi1024EflPKPfEEvT1_S5_T2_lS5_lPKT0_lS6_lS5_l.numbered_sgpr, 29
	.set _ZN9rocsolver6v33100L23larf_right_kernel_smallILi1024EflPKPfEEvT1_S5_T2_lS5_lPKT0_lS6_lS5_l.num_named_barrier, 0
	.set _ZN9rocsolver6v33100L23larf_right_kernel_smallILi1024EflPKPfEEvT1_S5_T2_lS5_lPKT0_lS6_lS5_l.private_seg_size, 0
	.set _ZN9rocsolver6v33100L23larf_right_kernel_smallILi1024EflPKPfEEvT1_S5_T2_lS5_lPKT0_lS6_lS5_l.uses_vcc, 1
	.set _ZN9rocsolver6v33100L23larf_right_kernel_smallILi1024EflPKPfEEvT1_S5_T2_lS5_lPKT0_lS6_lS5_l.uses_flat_scratch, 0
	.set _ZN9rocsolver6v33100L23larf_right_kernel_smallILi1024EflPKPfEEvT1_S5_T2_lS5_lPKT0_lS6_lS5_l.has_dyn_sized_stack, 0
	.set _ZN9rocsolver6v33100L23larf_right_kernel_smallILi1024EflPKPfEEvT1_S5_T2_lS5_lPKT0_lS6_lS5_l.has_recursion, 0
	.set _ZN9rocsolver6v33100L23larf_right_kernel_smallILi1024EflPKPfEEvT1_S5_T2_lS5_lPKT0_lS6_lS5_l.has_indirect_call, 0
	.section	.AMDGPU.csdata,"",@progbits
; Kernel info:
; codeLenInByte = 1824
; TotalNumSgprs: 31
; NumVgprs: 37
; ScratchSize: 0
; MemoryBound: 0
; FloatMode: 240
; IeeeMode: 1
; LDSByteSize: 8320 bytes/workgroup (compile time only)
; SGPRBlocks: 0
; VGPRBlocks: 4
; NumSGPRsForWavesPerEU: 31
; NumVGPRsForWavesPerEU: 37
; Occupancy: 16
; WaveLimiterHint : 1
; COMPUTE_PGM_RSRC2:SCRATCH_EN: 0
; COMPUTE_PGM_RSRC2:USER_SGPR: 2
; COMPUTE_PGM_RSRC2:TRAP_HANDLER: 0
; COMPUTE_PGM_RSRC2:TGID_X_EN: 1
; COMPUTE_PGM_RSRC2:TGID_Y_EN: 1
; COMPUTE_PGM_RSRC2:TGID_Z_EN: 0
; COMPUTE_PGM_RSRC2:TIDIG_COMP_CNT: 0
	.section	.AMDGPU.gpr_maximums,"",@progbits
	.set amdgpu.max_num_vgpr, 0
	.set amdgpu.max_num_agpr, 0
	.set amdgpu.max_num_sgpr, 0
	.section	.AMDGPU.csdata,"",@progbits
	.type	__hip_cuid_451f78cf7225bc44,@object ; @__hip_cuid_451f78cf7225bc44
	.section	.bss,"aw",@nobits
	.globl	__hip_cuid_451f78cf7225bc44
__hip_cuid_451f78cf7225bc44:
	.byte	0                               ; 0x0
	.size	__hip_cuid_451f78cf7225bc44, 1

	.ident	"AMD clang version 22.0.0git (https://github.com/RadeonOpenCompute/llvm-project roc-7.2.4 26084 f58b06dce1f9c15707c5f808fd002e18c2accf7e)"
	.section	".note.GNU-stack","",@progbits
	.addrsig
	.addrsig_sym __hip_cuid_451f78cf7225bc44
	.amdgpu_metadata
---
amdhsa.kernels:
  - .args:
      - .offset:         0
        .size:           4
        .value_kind:     by_value
      - .offset:         4
        .size:           4
        .value_kind:     by_value
      - .address_space:  global
        .offset:         8
        .size:           8
        .value_kind:     global_buffer
      - .offset:         16
        .size:           8
        .value_kind:     by_value
      - .offset:         24
        .size:           4
        .value_kind:     by_value
      - .offset:         32
        .size:           8
        .value_kind:     by_value
      - .address_space:  global
        .offset:         40
        .size:           8
        .value_kind:     global_buffer
      - .offset:         48
        .size:           8
        .value_kind:     by_value
      - .address_space:  global
        .offset:         56
        .size:           8
        .value_kind:     global_buffer
      - .offset:         64
        .size:           8
        .value_kind:     by_value
      - .offset:         72
        .size:           4
        .value_kind:     by_value
      - .offset:         80
        .size:           8
        .value_kind:     by_value
    .group_segment_fixed_size: 8448
    .kernarg_segment_align: 8
    .kernarg_segment_size: 88
    .language:       OpenCL C
    .language_version:
      - 2
      - 0
    .max_flat_workgroup_size: 64
    .name:           _ZN9rocsolver6v33100L22larf_left_kernel_smallILi64EfiPfEEvT1_S3_T2_lS3_lPKT0_lS4_lS3_l
    .private_segment_fixed_size: 0
    .sgpr_count:     28
    .sgpr_spill_count: 0
    .symbol:         _ZN9rocsolver6v33100L22larf_left_kernel_smallILi64EfiPfEEvT1_S3_T2_lS3_lPKT0_lS4_lS3_l.kd
    .uniform_work_group_size: 1
    .uses_dynamic_stack: false
    .vgpr_count:     17
    .vgpr_spill_count: 0
    .wavefront_size: 32
    .workgroup_processor_mode: 1
  - .args:
      - .offset:         0
        .size:           4
        .value_kind:     by_value
      - .offset:         4
        .size:           4
        .value_kind:     by_value
      - .address_space:  global
        .offset:         8
        .size:           8
        .value_kind:     global_buffer
      - .offset:         16
        .size:           8
        .value_kind:     by_value
      - .offset:         24
        .size:           4
        .value_kind:     by_value
      - .offset:         32
        .size:           8
        .value_kind:     by_value
      - .address_space:  global
        .offset:         40
        .size:           8
        .value_kind:     global_buffer
      - .offset:         48
        .size:           8
        .value_kind:     by_value
      - .address_space:  global
        .offset:         56
        .size:           8
        .value_kind:     global_buffer
      - .offset:         64
        .size:           8
        .value_kind:     by_value
      - .offset:         72
        .size:           4
        .value_kind:     by_value
      - .offset:         80
        .size:           8
        .value_kind:     by_value
    .group_segment_fixed_size: 8704
    .kernarg_segment_align: 8
    .kernarg_segment_size: 88
    .language:       OpenCL C
    .language_version:
      - 2
      - 0
    .max_flat_workgroup_size: 128
    .name:           _ZN9rocsolver6v33100L22larf_left_kernel_smallILi128EfiPfEEvT1_S3_T2_lS3_lPKT0_lS4_lS3_l
    .private_segment_fixed_size: 0
    .sgpr_count:     28
    .sgpr_spill_count: 0
    .symbol:         _ZN9rocsolver6v33100L22larf_left_kernel_smallILi128EfiPfEEvT1_S3_T2_lS3_lPKT0_lS4_lS3_l.kd
    .uniform_work_group_size: 1
    .uses_dynamic_stack: false
    .vgpr_count:     18
    .vgpr_spill_count: 0
    .wavefront_size: 32
    .workgroup_processor_mode: 1
  - .args:
      - .offset:         0
        .size:           4
        .value_kind:     by_value
      - .offset:         4
        .size:           4
        .value_kind:     by_value
      - .address_space:  global
        .offset:         8
        .size:           8
        .value_kind:     global_buffer
      - .offset:         16
        .size:           8
        .value_kind:     by_value
      - .offset:         24
        .size:           4
        .value_kind:     by_value
      - .offset:         32
        .size:           8
        .value_kind:     by_value
      - .address_space:  global
        .offset:         40
        .size:           8
        .value_kind:     global_buffer
      - .offset:         48
        .size:           8
        .value_kind:     by_value
      - .address_space:  global
        .offset:         56
        .size:           8
        .value_kind:     global_buffer
      - .offset:         64
        .size:           8
        .value_kind:     by_value
      - .offset:         72
        .size:           4
        .value_kind:     by_value
      - .offset:         80
        .size:           8
        .value_kind:     by_value
    .group_segment_fixed_size: 9216
    .kernarg_segment_align: 8
    .kernarg_segment_size: 88
    .language:       OpenCL C
    .language_version:
      - 2
      - 0
    .max_flat_workgroup_size: 256
    .name:           _ZN9rocsolver6v33100L22larf_left_kernel_smallILi256EfiPfEEvT1_S3_T2_lS3_lPKT0_lS4_lS3_l
    .private_segment_fixed_size: 0
    .sgpr_count:     28
    .sgpr_spill_count: 0
    .symbol:         _ZN9rocsolver6v33100L22larf_left_kernel_smallILi256EfiPfEEvT1_S3_T2_lS3_lPKT0_lS4_lS3_l.kd
    .uniform_work_group_size: 1
    .uses_dynamic_stack: false
    .vgpr_count:     22
    .vgpr_spill_count: 0
    .wavefront_size: 32
    .workgroup_processor_mode: 1
  - .args:
      - .offset:         0
        .size:           4
        .value_kind:     by_value
      - .offset:         4
        .size:           4
        .value_kind:     by_value
      - .address_space:  global
        .offset:         8
        .size:           8
        .value_kind:     global_buffer
      - .offset:         16
        .size:           8
        .value_kind:     by_value
      - .offset:         24
        .size:           4
        .value_kind:     by_value
      - .offset:         32
        .size:           8
        .value_kind:     by_value
      - .address_space:  global
        .offset:         40
        .size:           8
        .value_kind:     global_buffer
      - .offset:         48
        .size:           8
        .value_kind:     by_value
      - .address_space:  global
        .offset:         56
        .size:           8
        .value_kind:     global_buffer
      - .offset:         64
        .size:           8
        .value_kind:     by_value
      - .offset:         72
        .size:           4
        .value_kind:     by_value
      - .offset:         80
        .size:           8
        .value_kind:     by_value
    .group_segment_fixed_size: 10240
    .kernarg_segment_align: 8
    .kernarg_segment_size: 88
    .language:       OpenCL C
    .language_version:
      - 2
      - 0
    .max_flat_workgroup_size: 512
    .name:           _ZN9rocsolver6v33100L22larf_left_kernel_smallILi512EfiPfEEvT1_S3_T2_lS3_lPKT0_lS4_lS3_l
    .private_segment_fixed_size: 0
    .sgpr_count:     28
    .sgpr_spill_count: 0
    .symbol:         _ZN9rocsolver6v33100L22larf_left_kernel_smallILi512EfiPfEEvT1_S3_T2_lS3_lPKT0_lS4_lS3_l.kd
    .uniform_work_group_size: 1
    .uses_dynamic_stack: false
    .vgpr_count:     28
    .vgpr_spill_count: 0
    .wavefront_size: 32
    .workgroup_processor_mode: 1
  - .args:
      - .offset:         0
        .size:           4
        .value_kind:     by_value
      - .offset:         4
        .size:           4
        .value_kind:     by_value
      - .address_space:  global
        .offset:         8
        .size:           8
        .value_kind:     global_buffer
      - .offset:         16
        .size:           8
        .value_kind:     by_value
      - .offset:         24
        .size:           4
        .value_kind:     by_value
      - .offset:         32
        .size:           8
        .value_kind:     by_value
      - .address_space:  global
        .offset:         40
        .size:           8
        .value_kind:     global_buffer
      - .offset:         48
        .size:           8
        .value_kind:     by_value
      - .address_space:  global
        .offset:         56
        .size:           8
        .value_kind:     global_buffer
      - .offset:         64
        .size:           8
        .value_kind:     by_value
      - .offset:         72
        .size:           4
        .value_kind:     by_value
      - .offset:         80
        .size:           8
        .value_kind:     by_value
    .group_segment_fixed_size: 12288
    .kernarg_segment_align: 8
    .kernarg_segment_size: 88
    .language:       OpenCL C
    .language_version:
      - 2
      - 0
    .max_flat_workgroup_size: 1024
    .name:           _ZN9rocsolver6v33100L22larf_left_kernel_smallILi1024EfiPfEEvT1_S3_T2_lS3_lPKT0_lS4_lS3_l
    .private_segment_fixed_size: 0
    .sgpr_count:     28
    .sgpr_spill_count: 0
    .symbol:         _ZN9rocsolver6v33100L22larf_left_kernel_smallILi1024EfiPfEEvT1_S3_T2_lS3_lPKT0_lS4_lS3_l.kd
    .uniform_work_group_size: 1
    .uses_dynamic_stack: false
    .vgpr_count:     36
    .vgpr_spill_count: 0
    .wavefront_size: 32
    .workgroup_processor_mode: 1
  - .args:
      - .offset:         0
        .size:           4
        .value_kind:     by_value
      - .offset:         4
        .size:           4
        .value_kind:     by_value
      - .address_space:  global
        .offset:         8
        .size:           8
        .value_kind:     global_buffer
      - .offset:         16
        .size:           8
        .value_kind:     by_value
      - .offset:         24
        .size:           4
        .value_kind:     by_value
      - .offset:         32
        .size:           8
        .value_kind:     by_value
      - .address_space:  global
        .offset:         40
        .size:           8
        .value_kind:     global_buffer
      - .offset:         48
        .size:           8
        .value_kind:     by_value
      - .address_space:  global
        .offset:         56
        .size:           8
        .value_kind:     global_buffer
      - .offset:         64
        .size:           8
        .value_kind:     by_value
      - .offset:         72
        .size:           4
        .value_kind:     by_value
      - .offset:         80
        .size:           8
        .value_kind:     by_value
    .group_segment_fixed_size: 8200
    .kernarg_segment_align: 8
    .kernarg_segment_size: 88
    .language:       OpenCL C
    .language_version:
      - 2
      - 0
    .max_flat_workgroup_size: 64
    .name:           _ZN9rocsolver6v33100L23larf_right_kernel_smallILi64EfiPfEEvT1_S3_T2_lS3_lPKT0_lS4_lS3_l
    .private_segment_fixed_size: 0
    .sgpr_count:     28
    .sgpr_spill_count: 0
    .symbol:         _ZN9rocsolver6v33100L23larf_right_kernel_smallILi64EfiPfEEvT1_S3_T2_lS3_lPKT0_lS4_lS3_l.kd
    .uniform_work_group_size: 1
    .uses_dynamic_stack: false
    .vgpr_count:     15
    .vgpr_spill_count: 0
    .wavefront_size: 32
    .workgroup_processor_mode: 1
  - .args:
      - .offset:         0
        .size:           4
        .value_kind:     by_value
      - .offset:         4
        .size:           4
        .value_kind:     by_value
      - .address_space:  global
        .offset:         8
        .size:           8
        .value_kind:     global_buffer
      - .offset:         16
        .size:           8
        .value_kind:     by_value
      - .offset:         24
        .size:           4
        .value_kind:     by_value
      - .offset:         32
        .size:           8
        .value_kind:     by_value
      - .address_space:  global
        .offset:         40
        .size:           8
        .value_kind:     global_buffer
      - .offset:         48
        .size:           8
        .value_kind:     by_value
      - .address_space:  global
        .offset:         56
        .size:           8
        .value_kind:     global_buffer
      - .offset:         64
        .size:           8
        .value_kind:     by_value
      - .offset:         72
        .size:           4
        .value_kind:     by_value
      - .offset:         80
        .size:           8
        .value_kind:     by_value
    .group_segment_fixed_size: 8208
    .kernarg_segment_align: 8
    .kernarg_segment_size: 88
    .language:       OpenCL C
    .language_version:
      - 2
      - 0
    .max_flat_workgroup_size: 128
    .name:           _ZN9rocsolver6v33100L23larf_right_kernel_smallILi128EfiPfEEvT1_S3_T2_lS3_lPKT0_lS4_lS3_l
    .private_segment_fixed_size: 0
    .sgpr_count:     28
    .sgpr_spill_count: 0
    .symbol:         _ZN9rocsolver6v33100L23larf_right_kernel_smallILi128EfiPfEEvT1_S3_T2_lS3_lPKT0_lS4_lS3_l.kd
    .uniform_work_group_size: 1
    .uses_dynamic_stack: false
    .vgpr_count:     16
    .vgpr_spill_count: 0
    .wavefront_size: 32
    .workgroup_processor_mode: 1
  - .args:
      - .offset:         0
        .size:           4
        .value_kind:     by_value
      - .offset:         4
        .size:           4
        .value_kind:     by_value
      - .address_space:  global
        .offset:         8
        .size:           8
        .value_kind:     global_buffer
      - .offset:         16
        .size:           8
        .value_kind:     by_value
      - .offset:         24
        .size:           4
        .value_kind:     by_value
      - .offset:         32
        .size:           8
        .value_kind:     by_value
      - .address_space:  global
        .offset:         40
        .size:           8
        .value_kind:     global_buffer
      - .offset:         48
        .size:           8
        .value_kind:     by_value
      - .address_space:  global
        .offset:         56
        .size:           8
        .value_kind:     global_buffer
      - .offset:         64
        .size:           8
        .value_kind:     by_value
      - .offset:         72
        .size:           4
        .value_kind:     by_value
      - .offset:         80
        .size:           8
        .value_kind:     by_value
    .group_segment_fixed_size: 8224
    .kernarg_segment_align: 8
    .kernarg_segment_size: 88
    .language:       OpenCL C
    .language_version:
      - 2
      - 0
    .max_flat_workgroup_size: 256
    .name:           _ZN9rocsolver6v33100L23larf_right_kernel_smallILi256EfiPfEEvT1_S3_T2_lS3_lPKT0_lS4_lS3_l
    .private_segment_fixed_size: 0
    .sgpr_count:     28
    .sgpr_spill_count: 0
    .symbol:         _ZN9rocsolver6v33100L23larf_right_kernel_smallILi256EfiPfEEvT1_S3_T2_lS3_lPKT0_lS4_lS3_l.kd
    .uniform_work_group_size: 1
    .uses_dynamic_stack: false
    .vgpr_count:     19
    .vgpr_spill_count: 0
    .wavefront_size: 32
    .workgroup_processor_mode: 1
  - .args:
      - .offset:         0
        .size:           4
        .value_kind:     by_value
      - .offset:         4
        .size:           4
        .value_kind:     by_value
      - .address_space:  global
        .offset:         8
        .size:           8
        .value_kind:     global_buffer
      - .offset:         16
        .size:           8
        .value_kind:     by_value
      - .offset:         24
        .size:           4
        .value_kind:     by_value
      - .offset:         32
        .size:           8
        .value_kind:     by_value
      - .address_space:  global
        .offset:         40
        .size:           8
        .value_kind:     global_buffer
      - .offset:         48
        .size:           8
        .value_kind:     by_value
      - .address_space:  global
        .offset:         56
        .size:           8
        .value_kind:     global_buffer
      - .offset:         64
        .size:           8
        .value_kind:     by_value
      - .offset:         72
        .size:           4
        .value_kind:     by_value
      - .offset:         80
        .size:           8
        .value_kind:     by_value
    .group_segment_fixed_size: 8256
    .kernarg_segment_align: 8
    .kernarg_segment_size: 88
    .language:       OpenCL C
    .language_version:
      - 2
      - 0
    .max_flat_workgroup_size: 512
    .name:           _ZN9rocsolver6v33100L23larf_right_kernel_smallILi512EfiPfEEvT1_S3_T2_lS3_lPKT0_lS4_lS3_l
    .private_segment_fixed_size: 0
    .sgpr_count:     28
    .sgpr_spill_count: 0
    .symbol:         _ZN9rocsolver6v33100L23larf_right_kernel_smallILi512EfiPfEEvT1_S3_T2_lS3_lPKT0_lS4_lS3_l.kd
    .uniform_work_group_size: 1
    .uses_dynamic_stack: false
    .vgpr_count:     25
    .vgpr_spill_count: 0
    .wavefront_size: 32
    .workgroup_processor_mode: 1
  - .args:
      - .offset:         0
        .size:           4
        .value_kind:     by_value
      - .offset:         4
        .size:           4
        .value_kind:     by_value
      - .address_space:  global
        .offset:         8
        .size:           8
        .value_kind:     global_buffer
      - .offset:         16
        .size:           8
        .value_kind:     by_value
      - .offset:         24
        .size:           4
        .value_kind:     by_value
      - .offset:         32
        .size:           8
        .value_kind:     by_value
      - .address_space:  global
        .offset:         40
        .size:           8
        .value_kind:     global_buffer
      - .offset:         48
        .size:           8
        .value_kind:     by_value
      - .address_space:  global
        .offset:         56
        .size:           8
        .value_kind:     global_buffer
      - .offset:         64
        .size:           8
        .value_kind:     by_value
      - .offset:         72
        .size:           4
        .value_kind:     by_value
      - .offset:         80
        .size:           8
        .value_kind:     by_value
    .group_segment_fixed_size: 8320
    .kernarg_segment_align: 8
    .kernarg_segment_size: 88
    .language:       OpenCL C
    .language_version:
      - 2
      - 0
    .max_flat_workgroup_size: 1024
    .name:           _ZN9rocsolver6v33100L23larf_right_kernel_smallILi1024EfiPfEEvT1_S3_T2_lS3_lPKT0_lS4_lS3_l
    .private_segment_fixed_size: 0
    .sgpr_count:     28
    .sgpr_spill_count: 0
    .symbol:         _ZN9rocsolver6v33100L23larf_right_kernel_smallILi1024EfiPfEEvT1_S3_T2_lS3_lPKT0_lS4_lS3_l.kd
    .uniform_work_group_size: 1
    .uses_dynamic_stack: false
    .vgpr_count:     33
    .vgpr_spill_count: 0
    .wavefront_size: 32
    .workgroup_processor_mode: 1
  - .args:
      - .offset:         0
        .size:           4
        .value_kind:     by_value
      - .offset:         4
        .size:           4
        .value_kind:     by_value
      - .address_space:  global
        .offset:         8
        .size:           8
        .value_kind:     global_buffer
      - .offset:         16
        .size:           8
        .value_kind:     by_value
      - .offset:         24
        .size:           4
        .value_kind:     by_value
      - .offset:         32
        .size:           8
        .value_kind:     by_value
      - .address_space:  global
        .offset:         40
        .size:           8
        .value_kind:     global_buffer
      - .offset:         48
        .size:           8
        .value_kind:     by_value
      - .address_space:  global
        .offset:         56
        .size:           8
        .value_kind:     global_buffer
      - .offset:         64
        .size:           8
        .value_kind:     by_value
      - .offset:         72
        .size:           4
        .value_kind:     by_value
      - .offset:         80
        .size:           8
        .value_kind:     by_value
    .group_segment_fixed_size: 8448
    .kernarg_segment_align: 8
    .kernarg_segment_size: 88
    .language:       OpenCL C
    .language_version:
      - 2
      - 0
    .max_flat_workgroup_size: 64
    .name:           _ZN9rocsolver6v33100L22larf_left_kernel_smallILi64EfiPKPfEEvT1_S5_T2_lS5_lPKT0_lS6_lS5_l
    .private_segment_fixed_size: 0
    .sgpr_count:     26
    .sgpr_spill_count: 0
    .symbol:         _ZN9rocsolver6v33100L22larf_left_kernel_smallILi64EfiPKPfEEvT1_S5_T2_lS5_lPKT0_lS6_lS5_l.kd
    .uniform_work_group_size: 1
    .uses_dynamic_stack: false
    .vgpr_count:     17
    .vgpr_spill_count: 0
    .wavefront_size: 32
    .workgroup_processor_mode: 1
  - .args:
      - .offset:         0
        .size:           4
        .value_kind:     by_value
      - .offset:         4
        .size:           4
        .value_kind:     by_value
      - .address_space:  global
        .offset:         8
        .size:           8
        .value_kind:     global_buffer
      - .offset:         16
        .size:           8
        .value_kind:     by_value
      - .offset:         24
        .size:           4
        .value_kind:     by_value
      - .offset:         32
        .size:           8
        .value_kind:     by_value
      - .address_space:  global
        .offset:         40
        .size:           8
        .value_kind:     global_buffer
      - .offset:         48
        .size:           8
        .value_kind:     by_value
      - .address_space:  global
        .offset:         56
        .size:           8
        .value_kind:     global_buffer
      - .offset:         64
        .size:           8
        .value_kind:     by_value
      - .offset:         72
        .size:           4
        .value_kind:     by_value
      - .offset:         80
        .size:           8
        .value_kind:     by_value
    .group_segment_fixed_size: 8704
    .kernarg_segment_align: 8
    .kernarg_segment_size: 88
    .language:       OpenCL C
    .language_version:
      - 2
      - 0
    .max_flat_workgroup_size: 128
    .name:           _ZN9rocsolver6v33100L22larf_left_kernel_smallILi128EfiPKPfEEvT1_S5_T2_lS5_lPKT0_lS6_lS5_l
    .private_segment_fixed_size: 0
    .sgpr_count:     26
    .sgpr_spill_count: 0
    .symbol:         _ZN9rocsolver6v33100L22larf_left_kernel_smallILi128EfiPKPfEEvT1_S5_T2_lS5_lPKT0_lS6_lS5_l.kd
    .uniform_work_group_size: 1
    .uses_dynamic_stack: false
    .vgpr_count:     18
    .vgpr_spill_count: 0
    .wavefront_size: 32
    .workgroup_processor_mode: 1
  - .args:
      - .offset:         0
        .size:           4
        .value_kind:     by_value
      - .offset:         4
        .size:           4
        .value_kind:     by_value
      - .address_space:  global
        .offset:         8
        .size:           8
        .value_kind:     global_buffer
      - .offset:         16
        .size:           8
        .value_kind:     by_value
      - .offset:         24
        .size:           4
        .value_kind:     by_value
      - .offset:         32
        .size:           8
        .value_kind:     by_value
      - .address_space:  global
        .offset:         40
        .size:           8
        .value_kind:     global_buffer
      - .offset:         48
        .size:           8
        .value_kind:     by_value
      - .address_space:  global
        .offset:         56
        .size:           8
        .value_kind:     global_buffer
      - .offset:         64
        .size:           8
        .value_kind:     by_value
      - .offset:         72
        .size:           4
        .value_kind:     by_value
      - .offset:         80
        .size:           8
        .value_kind:     by_value
    .group_segment_fixed_size: 9216
    .kernarg_segment_align: 8
    .kernarg_segment_size: 88
    .language:       OpenCL C
    .language_version:
      - 2
      - 0
    .max_flat_workgroup_size: 256
    .name:           _ZN9rocsolver6v33100L22larf_left_kernel_smallILi256EfiPKPfEEvT1_S5_T2_lS5_lPKT0_lS6_lS5_l
    .private_segment_fixed_size: 0
    .sgpr_count:     26
    .sgpr_spill_count: 0
    .symbol:         _ZN9rocsolver6v33100L22larf_left_kernel_smallILi256EfiPKPfEEvT1_S5_T2_lS5_lPKT0_lS6_lS5_l.kd
    .uniform_work_group_size: 1
    .uses_dynamic_stack: false
    .vgpr_count:     22
    .vgpr_spill_count: 0
    .wavefront_size: 32
    .workgroup_processor_mode: 1
  - .args:
      - .offset:         0
        .size:           4
        .value_kind:     by_value
      - .offset:         4
        .size:           4
        .value_kind:     by_value
      - .address_space:  global
        .offset:         8
        .size:           8
        .value_kind:     global_buffer
      - .offset:         16
        .size:           8
        .value_kind:     by_value
      - .offset:         24
        .size:           4
        .value_kind:     by_value
      - .offset:         32
        .size:           8
        .value_kind:     by_value
      - .address_space:  global
        .offset:         40
        .size:           8
        .value_kind:     global_buffer
      - .offset:         48
        .size:           8
        .value_kind:     by_value
      - .address_space:  global
        .offset:         56
        .size:           8
        .value_kind:     global_buffer
      - .offset:         64
        .size:           8
        .value_kind:     by_value
      - .offset:         72
        .size:           4
        .value_kind:     by_value
      - .offset:         80
        .size:           8
        .value_kind:     by_value
    .group_segment_fixed_size: 10240
    .kernarg_segment_align: 8
    .kernarg_segment_size: 88
    .language:       OpenCL C
    .language_version:
      - 2
      - 0
    .max_flat_workgroup_size: 512
    .name:           _ZN9rocsolver6v33100L22larf_left_kernel_smallILi512EfiPKPfEEvT1_S5_T2_lS5_lPKT0_lS6_lS5_l
    .private_segment_fixed_size: 0
    .sgpr_count:     26
    .sgpr_spill_count: 0
    .symbol:         _ZN9rocsolver6v33100L22larf_left_kernel_smallILi512EfiPKPfEEvT1_S5_T2_lS5_lPKT0_lS6_lS5_l.kd
    .uniform_work_group_size: 1
    .uses_dynamic_stack: false
    .vgpr_count:     28
    .vgpr_spill_count: 0
    .wavefront_size: 32
    .workgroup_processor_mode: 1
  - .args:
      - .offset:         0
        .size:           4
        .value_kind:     by_value
      - .offset:         4
        .size:           4
        .value_kind:     by_value
      - .address_space:  global
        .offset:         8
        .size:           8
        .value_kind:     global_buffer
      - .offset:         16
        .size:           8
        .value_kind:     by_value
      - .offset:         24
        .size:           4
        .value_kind:     by_value
      - .offset:         32
        .size:           8
        .value_kind:     by_value
      - .address_space:  global
        .offset:         40
        .size:           8
        .value_kind:     global_buffer
      - .offset:         48
        .size:           8
        .value_kind:     by_value
      - .address_space:  global
        .offset:         56
        .size:           8
        .value_kind:     global_buffer
      - .offset:         64
        .size:           8
        .value_kind:     by_value
      - .offset:         72
        .size:           4
        .value_kind:     by_value
      - .offset:         80
        .size:           8
        .value_kind:     by_value
    .group_segment_fixed_size: 12288
    .kernarg_segment_align: 8
    .kernarg_segment_size: 88
    .language:       OpenCL C
    .language_version:
      - 2
      - 0
    .max_flat_workgroup_size: 1024
    .name:           _ZN9rocsolver6v33100L22larf_left_kernel_smallILi1024EfiPKPfEEvT1_S5_T2_lS5_lPKT0_lS6_lS5_l
    .private_segment_fixed_size: 0
    .sgpr_count:     26
    .sgpr_spill_count: 0
    .symbol:         _ZN9rocsolver6v33100L22larf_left_kernel_smallILi1024EfiPKPfEEvT1_S5_T2_lS5_lPKT0_lS6_lS5_l.kd
    .uniform_work_group_size: 1
    .uses_dynamic_stack: false
    .vgpr_count:     36
    .vgpr_spill_count: 0
    .wavefront_size: 32
    .workgroup_processor_mode: 1
  - .args:
      - .offset:         0
        .size:           4
        .value_kind:     by_value
      - .offset:         4
        .size:           4
        .value_kind:     by_value
      - .address_space:  global
        .offset:         8
        .size:           8
        .value_kind:     global_buffer
      - .offset:         16
        .size:           8
        .value_kind:     by_value
      - .offset:         24
        .size:           4
        .value_kind:     by_value
      - .offset:         32
        .size:           8
        .value_kind:     by_value
      - .address_space:  global
        .offset:         40
        .size:           8
        .value_kind:     global_buffer
      - .offset:         48
        .size:           8
        .value_kind:     by_value
      - .address_space:  global
        .offset:         56
        .size:           8
        .value_kind:     global_buffer
      - .offset:         64
        .size:           8
        .value_kind:     by_value
      - .offset:         72
        .size:           4
        .value_kind:     by_value
      - .offset:         80
        .size:           8
        .value_kind:     by_value
    .group_segment_fixed_size: 8200
    .kernarg_segment_align: 8
    .kernarg_segment_size: 88
    .language:       OpenCL C
    .language_version:
      - 2
      - 0
    .max_flat_workgroup_size: 64
    .name:           _ZN9rocsolver6v33100L23larf_right_kernel_smallILi64EfiPKPfEEvT1_S5_T2_lS5_lPKT0_lS6_lS5_l
    .private_segment_fixed_size: 0
    .sgpr_count:     27
    .sgpr_spill_count: 0
    .symbol:         _ZN9rocsolver6v33100L23larf_right_kernel_smallILi64EfiPKPfEEvT1_S5_T2_lS5_lPKT0_lS6_lS5_l.kd
    .uniform_work_group_size: 1
    .uses_dynamic_stack: false
    .vgpr_count:     15
    .vgpr_spill_count: 0
    .wavefront_size: 32
    .workgroup_processor_mode: 1
  - .args:
      - .offset:         0
        .size:           4
        .value_kind:     by_value
      - .offset:         4
        .size:           4
        .value_kind:     by_value
      - .address_space:  global
        .offset:         8
        .size:           8
        .value_kind:     global_buffer
      - .offset:         16
        .size:           8
        .value_kind:     by_value
      - .offset:         24
        .size:           4
        .value_kind:     by_value
      - .offset:         32
        .size:           8
        .value_kind:     by_value
      - .address_space:  global
        .offset:         40
        .size:           8
        .value_kind:     global_buffer
      - .offset:         48
        .size:           8
        .value_kind:     by_value
      - .address_space:  global
        .offset:         56
        .size:           8
        .value_kind:     global_buffer
      - .offset:         64
        .size:           8
        .value_kind:     by_value
      - .offset:         72
        .size:           4
        .value_kind:     by_value
      - .offset:         80
        .size:           8
        .value_kind:     by_value
    .group_segment_fixed_size: 8208
    .kernarg_segment_align: 8
    .kernarg_segment_size: 88
    .language:       OpenCL C
    .language_version:
      - 2
      - 0
    .max_flat_workgroup_size: 128
    .name:           _ZN9rocsolver6v33100L23larf_right_kernel_smallILi128EfiPKPfEEvT1_S5_T2_lS5_lPKT0_lS6_lS5_l
    .private_segment_fixed_size: 0
    .sgpr_count:     27
    .sgpr_spill_count: 0
    .symbol:         _ZN9rocsolver6v33100L23larf_right_kernel_smallILi128EfiPKPfEEvT1_S5_T2_lS5_lPKT0_lS6_lS5_l.kd
    .uniform_work_group_size: 1
    .uses_dynamic_stack: false
    .vgpr_count:     16
    .vgpr_spill_count: 0
    .wavefront_size: 32
    .workgroup_processor_mode: 1
  - .args:
      - .offset:         0
        .size:           4
        .value_kind:     by_value
      - .offset:         4
        .size:           4
        .value_kind:     by_value
      - .address_space:  global
        .offset:         8
        .size:           8
        .value_kind:     global_buffer
      - .offset:         16
        .size:           8
        .value_kind:     by_value
      - .offset:         24
        .size:           4
        .value_kind:     by_value
      - .offset:         32
        .size:           8
        .value_kind:     by_value
      - .address_space:  global
        .offset:         40
        .size:           8
        .value_kind:     global_buffer
      - .offset:         48
        .size:           8
        .value_kind:     by_value
      - .address_space:  global
        .offset:         56
        .size:           8
        .value_kind:     global_buffer
      - .offset:         64
        .size:           8
        .value_kind:     by_value
      - .offset:         72
        .size:           4
        .value_kind:     by_value
      - .offset:         80
        .size:           8
        .value_kind:     by_value
    .group_segment_fixed_size: 8224
    .kernarg_segment_align: 8
    .kernarg_segment_size: 88
    .language:       OpenCL C
    .language_version:
      - 2
      - 0
    .max_flat_workgroup_size: 256
    .name:           _ZN9rocsolver6v33100L23larf_right_kernel_smallILi256EfiPKPfEEvT1_S5_T2_lS5_lPKT0_lS6_lS5_l
    .private_segment_fixed_size: 0
    .sgpr_count:     27
    .sgpr_spill_count: 0
    .symbol:         _ZN9rocsolver6v33100L23larf_right_kernel_smallILi256EfiPKPfEEvT1_S5_T2_lS5_lPKT0_lS6_lS5_l.kd
    .uniform_work_group_size: 1
    .uses_dynamic_stack: false
    .vgpr_count:     19
    .vgpr_spill_count: 0
    .wavefront_size: 32
    .workgroup_processor_mode: 1
  - .args:
      - .offset:         0
        .size:           4
        .value_kind:     by_value
      - .offset:         4
        .size:           4
        .value_kind:     by_value
      - .address_space:  global
        .offset:         8
        .size:           8
        .value_kind:     global_buffer
      - .offset:         16
        .size:           8
        .value_kind:     by_value
      - .offset:         24
        .size:           4
        .value_kind:     by_value
      - .offset:         32
        .size:           8
        .value_kind:     by_value
      - .address_space:  global
        .offset:         40
        .size:           8
        .value_kind:     global_buffer
      - .offset:         48
        .size:           8
        .value_kind:     by_value
      - .address_space:  global
        .offset:         56
        .size:           8
        .value_kind:     global_buffer
      - .offset:         64
        .size:           8
        .value_kind:     by_value
      - .offset:         72
        .size:           4
        .value_kind:     by_value
      - .offset:         80
        .size:           8
        .value_kind:     by_value
    .group_segment_fixed_size: 8256
    .kernarg_segment_align: 8
    .kernarg_segment_size: 88
    .language:       OpenCL C
    .language_version:
      - 2
      - 0
    .max_flat_workgroup_size: 512
    .name:           _ZN9rocsolver6v33100L23larf_right_kernel_smallILi512EfiPKPfEEvT1_S5_T2_lS5_lPKT0_lS6_lS5_l
    .private_segment_fixed_size: 0
    .sgpr_count:     27
    .sgpr_spill_count: 0
    .symbol:         _ZN9rocsolver6v33100L23larf_right_kernel_smallILi512EfiPKPfEEvT1_S5_T2_lS5_lPKT0_lS6_lS5_l.kd
    .uniform_work_group_size: 1
    .uses_dynamic_stack: false
    .vgpr_count:     25
    .vgpr_spill_count: 0
    .wavefront_size: 32
    .workgroup_processor_mode: 1
  - .args:
      - .offset:         0
        .size:           4
        .value_kind:     by_value
      - .offset:         4
        .size:           4
        .value_kind:     by_value
      - .address_space:  global
        .offset:         8
        .size:           8
        .value_kind:     global_buffer
      - .offset:         16
        .size:           8
        .value_kind:     by_value
      - .offset:         24
        .size:           4
        .value_kind:     by_value
      - .offset:         32
        .size:           8
        .value_kind:     by_value
      - .address_space:  global
        .offset:         40
        .size:           8
        .value_kind:     global_buffer
      - .offset:         48
        .size:           8
        .value_kind:     by_value
      - .address_space:  global
        .offset:         56
        .size:           8
        .value_kind:     global_buffer
      - .offset:         64
        .size:           8
        .value_kind:     by_value
      - .offset:         72
        .size:           4
        .value_kind:     by_value
      - .offset:         80
        .size:           8
        .value_kind:     by_value
    .group_segment_fixed_size: 8320
    .kernarg_segment_align: 8
    .kernarg_segment_size: 88
    .language:       OpenCL C
    .language_version:
      - 2
      - 0
    .max_flat_workgroup_size: 1024
    .name:           _ZN9rocsolver6v33100L23larf_right_kernel_smallILi1024EfiPKPfEEvT1_S5_T2_lS5_lPKT0_lS6_lS5_l
    .private_segment_fixed_size: 0
    .sgpr_count:     27
    .sgpr_spill_count: 0
    .symbol:         _ZN9rocsolver6v33100L23larf_right_kernel_smallILi1024EfiPKPfEEvT1_S5_T2_lS5_lPKT0_lS6_lS5_l.kd
    .uniform_work_group_size: 1
    .uses_dynamic_stack: false
    .vgpr_count:     33
    .vgpr_spill_count: 0
    .wavefront_size: 32
    .workgroup_processor_mode: 1
  - .args:
      - .offset:         0
        .size:           8
        .value_kind:     by_value
      - .offset:         8
        .size:           8
        .value_kind:     by_value
      - .address_space:  global
        .offset:         16
        .size:           8
        .value_kind:     global_buffer
      - .offset:         24
        .size:           8
        .value_kind:     by_value
      - .offset:         32
        .size:           8
        .value_kind:     by_value
      - .offset:         40
        .size:           8
        .value_kind:     by_value
      - .address_space:  global
        .offset:         48
        .size:           8
        .value_kind:     global_buffer
      - .offset:         56
        .size:           8
        .value_kind:     by_value
      - .address_space:  global
        .offset:         64
        .size:           8
        .value_kind:     global_buffer
      - .offset:         72
        .size:           8
        .value_kind:     by_value
      - .offset:         80
        .size:           8
        .value_kind:     by_value
      - .offset:         88
        .size:           8
        .value_kind:     by_value
    .group_segment_fixed_size: 8448
    .kernarg_segment_align: 8
    .kernarg_segment_size: 96
    .language:       OpenCL C
    .language_version:
      - 2
      - 0
    .max_flat_workgroup_size: 64
    .name:           _ZN9rocsolver6v33100L22larf_left_kernel_smallILi64EflPfEEvT1_S3_T2_lS3_lPKT0_lS4_lS3_l
    .private_segment_fixed_size: 0
    .sgpr_count:     28
    .sgpr_spill_count: 0
    .symbol:         _ZN9rocsolver6v33100L22larf_left_kernel_smallILi64EflPfEEvT1_S3_T2_lS3_lPKT0_lS4_lS3_l.kd
    .uniform_work_group_size: 1
    .uses_dynamic_stack: false
    .vgpr_count:     17
    .vgpr_spill_count: 0
    .wavefront_size: 32
    .workgroup_processor_mode: 1
  - .args:
      - .offset:         0
        .size:           8
        .value_kind:     by_value
      - .offset:         8
        .size:           8
        .value_kind:     by_value
      - .address_space:  global
        .offset:         16
        .size:           8
        .value_kind:     global_buffer
      - .offset:         24
        .size:           8
        .value_kind:     by_value
      - .offset:         32
        .size:           8
        .value_kind:     by_value
      - .offset:         40
        .size:           8
        .value_kind:     by_value
      - .address_space:  global
        .offset:         48
        .size:           8
        .value_kind:     global_buffer
      - .offset:         56
        .size:           8
        .value_kind:     by_value
      - .address_space:  global
        .offset:         64
        .size:           8
        .value_kind:     global_buffer
      - .offset:         72
        .size:           8
        .value_kind:     by_value
      - .offset:         80
        .size:           8
        .value_kind:     by_value
      - .offset:         88
        .size:           8
        .value_kind:     by_value
    .group_segment_fixed_size: 8704
    .kernarg_segment_align: 8
    .kernarg_segment_size: 96
    .language:       OpenCL C
    .language_version:
      - 2
      - 0
    .max_flat_workgroup_size: 128
    .name:           _ZN9rocsolver6v33100L22larf_left_kernel_smallILi128EflPfEEvT1_S3_T2_lS3_lPKT0_lS4_lS3_l
    .private_segment_fixed_size: 0
    .sgpr_count:     28
    .sgpr_spill_count: 0
    .symbol:         _ZN9rocsolver6v33100L22larf_left_kernel_smallILi128EflPfEEvT1_S3_T2_lS3_lPKT0_lS4_lS3_l.kd
    .uniform_work_group_size: 1
    .uses_dynamic_stack: false
    .vgpr_count:     18
    .vgpr_spill_count: 0
    .wavefront_size: 32
    .workgroup_processor_mode: 1
  - .args:
      - .offset:         0
        .size:           8
        .value_kind:     by_value
      - .offset:         8
        .size:           8
        .value_kind:     by_value
      - .address_space:  global
        .offset:         16
        .size:           8
        .value_kind:     global_buffer
      - .offset:         24
        .size:           8
        .value_kind:     by_value
      - .offset:         32
        .size:           8
        .value_kind:     by_value
      - .offset:         40
        .size:           8
        .value_kind:     by_value
      - .address_space:  global
        .offset:         48
        .size:           8
        .value_kind:     global_buffer
      - .offset:         56
        .size:           8
        .value_kind:     by_value
      - .address_space:  global
        .offset:         64
        .size:           8
        .value_kind:     global_buffer
      - .offset:         72
        .size:           8
        .value_kind:     by_value
      - .offset:         80
        .size:           8
        .value_kind:     by_value
      - .offset:         88
        .size:           8
        .value_kind:     by_value
    .group_segment_fixed_size: 9216
    .kernarg_segment_align: 8
    .kernarg_segment_size: 96
    .language:       OpenCL C
    .language_version:
      - 2
      - 0
    .max_flat_workgroup_size: 256
    .name:           _ZN9rocsolver6v33100L22larf_left_kernel_smallILi256EflPfEEvT1_S3_T2_lS3_lPKT0_lS4_lS3_l
    .private_segment_fixed_size: 0
    .sgpr_count:     28
    .sgpr_spill_count: 0
    .symbol:         _ZN9rocsolver6v33100L22larf_left_kernel_smallILi256EflPfEEvT1_S3_T2_lS3_lPKT0_lS4_lS3_l.kd
    .uniform_work_group_size: 1
    .uses_dynamic_stack: false
    .vgpr_count:     22
    .vgpr_spill_count: 0
    .wavefront_size: 32
    .workgroup_processor_mode: 1
  - .args:
      - .offset:         0
        .size:           8
        .value_kind:     by_value
      - .offset:         8
        .size:           8
        .value_kind:     by_value
      - .address_space:  global
        .offset:         16
        .size:           8
        .value_kind:     global_buffer
      - .offset:         24
        .size:           8
        .value_kind:     by_value
      - .offset:         32
        .size:           8
        .value_kind:     by_value
      - .offset:         40
        .size:           8
        .value_kind:     by_value
      - .address_space:  global
        .offset:         48
        .size:           8
        .value_kind:     global_buffer
      - .offset:         56
        .size:           8
        .value_kind:     by_value
      - .address_space:  global
        .offset:         64
        .size:           8
        .value_kind:     global_buffer
      - .offset:         72
        .size:           8
        .value_kind:     by_value
      - .offset:         80
        .size:           8
        .value_kind:     by_value
      - .offset:         88
        .size:           8
        .value_kind:     by_value
    .group_segment_fixed_size: 10240
    .kernarg_segment_align: 8
    .kernarg_segment_size: 96
    .language:       OpenCL C
    .language_version:
      - 2
      - 0
    .max_flat_workgroup_size: 512
    .name:           _ZN9rocsolver6v33100L22larf_left_kernel_smallILi512EflPfEEvT1_S3_T2_lS3_lPKT0_lS4_lS3_l
    .private_segment_fixed_size: 0
    .sgpr_count:     28
    .sgpr_spill_count: 0
    .symbol:         _ZN9rocsolver6v33100L22larf_left_kernel_smallILi512EflPfEEvT1_S3_T2_lS3_lPKT0_lS4_lS3_l.kd
    .uniform_work_group_size: 1
    .uses_dynamic_stack: false
    .vgpr_count:     28
    .vgpr_spill_count: 0
    .wavefront_size: 32
    .workgroup_processor_mode: 1
  - .args:
      - .offset:         0
        .size:           8
        .value_kind:     by_value
      - .offset:         8
        .size:           8
        .value_kind:     by_value
      - .address_space:  global
        .offset:         16
        .size:           8
        .value_kind:     global_buffer
      - .offset:         24
        .size:           8
        .value_kind:     by_value
      - .offset:         32
        .size:           8
        .value_kind:     by_value
      - .offset:         40
        .size:           8
        .value_kind:     by_value
      - .address_space:  global
        .offset:         48
        .size:           8
        .value_kind:     global_buffer
      - .offset:         56
        .size:           8
        .value_kind:     by_value
      - .address_space:  global
        .offset:         64
        .size:           8
        .value_kind:     global_buffer
      - .offset:         72
        .size:           8
        .value_kind:     by_value
      - .offset:         80
        .size:           8
        .value_kind:     by_value
      - .offset:         88
        .size:           8
        .value_kind:     by_value
    .group_segment_fixed_size: 12288
    .kernarg_segment_align: 8
    .kernarg_segment_size: 96
    .language:       OpenCL C
    .language_version:
      - 2
      - 0
    .max_flat_workgroup_size: 1024
    .name:           _ZN9rocsolver6v33100L22larf_left_kernel_smallILi1024EflPfEEvT1_S3_T2_lS3_lPKT0_lS4_lS3_l
    .private_segment_fixed_size: 0
    .sgpr_count:     28
    .sgpr_spill_count: 0
    .symbol:         _ZN9rocsolver6v33100L22larf_left_kernel_smallILi1024EflPfEEvT1_S3_T2_lS3_lPKT0_lS4_lS3_l.kd
    .uniform_work_group_size: 1
    .uses_dynamic_stack: false
    .vgpr_count:     36
    .vgpr_spill_count: 0
    .wavefront_size: 32
    .workgroup_processor_mode: 1
  - .args:
      - .offset:         0
        .size:           8
        .value_kind:     by_value
      - .offset:         8
        .size:           8
        .value_kind:     by_value
      - .address_space:  global
        .offset:         16
        .size:           8
        .value_kind:     global_buffer
      - .offset:         24
        .size:           8
        .value_kind:     by_value
      - .offset:         32
        .size:           8
        .value_kind:     by_value
      - .offset:         40
        .size:           8
        .value_kind:     by_value
      - .address_space:  global
        .offset:         48
        .size:           8
        .value_kind:     global_buffer
      - .offset:         56
        .size:           8
        .value_kind:     by_value
      - .address_space:  global
        .offset:         64
        .size:           8
        .value_kind:     global_buffer
      - .offset:         72
        .size:           8
        .value_kind:     by_value
      - .offset:         80
        .size:           8
        .value_kind:     by_value
      - .offset:         88
        .size:           8
        .value_kind:     by_value
    .group_segment_fixed_size: 8200
    .kernarg_segment_align: 8
    .kernarg_segment_size: 96
    .language:       OpenCL C
    .language_version:
      - 2
      - 0
    .max_flat_workgroup_size: 64
    .name:           _ZN9rocsolver6v33100L23larf_right_kernel_smallILi64EflPfEEvT1_S3_T2_lS3_lPKT0_lS4_lS3_l
    .private_segment_fixed_size: 0
    .sgpr_count:     28
    .sgpr_spill_count: 0
    .symbol:         _ZN9rocsolver6v33100L23larf_right_kernel_smallILi64EflPfEEvT1_S3_T2_lS3_lPKT0_lS4_lS3_l.kd
    .uniform_work_group_size: 1
    .uses_dynamic_stack: false
    .vgpr_count:     18
    .vgpr_spill_count: 0
    .wavefront_size: 32
    .workgroup_processor_mode: 1
  - .args:
      - .offset:         0
        .size:           8
        .value_kind:     by_value
      - .offset:         8
        .size:           8
        .value_kind:     by_value
      - .address_space:  global
        .offset:         16
        .size:           8
        .value_kind:     global_buffer
      - .offset:         24
        .size:           8
        .value_kind:     by_value
      - .offset:         32
        .size:           8
        .value_kind:     by_value
      - .offset:         40
        .size:           8
        .value_kind:     by_value
      - .address_space:  global
        .offset:         48
        .size:           8
        .value_kind:     global_buffer
      - .offset:         56
        .size:           8
        .value_kind:     by_value
      - .address_space:  global
        .offset:         64
        .size:           8
        .value_kind:     global_buffer
      - .offset:         72
        .size:           8
        .value_kind:     by_value
      - .offset:         80
        .size:           8
        .value_kind:     by_value
      - .offset:         88
        .size:           8
        .value_kind:     by_value
    .group_segment_fixed_size: 8208
    .kernarg_segment_align: 8
    .kernarg_segment_size: 96
    .language:       OpenCL C
    .language_version:
      - 2
      - 0
    .max_flat_workgroup_size: 128
    .name:           _ZN9rocsolver6v33100L23larf_right_kernel_smallILi128EflPfEEvT1_S3_T2_lS3_lPKT0_lS4_lS3_l
    .private_segment_fixed_size: 0
    .sgpr_count:     28
    .sgpr_spill_count: 0
    .symbol:         _ZN9rocsolver6v33100L23larf_right_kernel_smallILi128EflPfEEvT1_S3_T2_lS3_lPKT0_lS4_lS3_l.kd
    .uniform_work_group_size: 1
    .uses_dynamic_stack: false
    .vgpr_count:     19
    .vgpr_spill_count: 0
    .wavefront_size: 32
    .workgroup_processor_mode: 1
  - .args:
      - .offset:         0
        .size:           8
        .value_kind:     by_value
      - .offset:         8
        .size:           8
        .value_kind:     by_value
      - .address_space:  global
        .offset:         16
        .size:           8
        .value_kind:     global_buffer
      - .offset:         24
        .size:           8
        .value_kind:     by_value
      - .offset:         32
        .size:           8
        .value_kind:     by_value
      - .offset:         40
        .size:           8
        .value_kind:     by_value
      - .address_space:  global
        .offset:         48
        .size:           8
        .value_kind:     global_buffer
      - .offset:         56
        .size:           8
        .value_kind:     by_value
      - .address_space:  global
        .offset:         64
        .size:           8
        .value_kind:     global_buffer
      - .offset:         72
        .size:           8
        .value_kind:     by_value
      - .offset:         80
        .size:           8
        .value_kind:     by_value
      - .offset:         88
        .size:           8
        .value_kind:     by_value
    .group_segment_fixed_size: 8224
    .kernarg_segment_align: 8
    .kernarg_segment_size: 96
    .language:       OpenCL C
    .language_version:
      - 2
      - 0
    .max_flat_workgroup_size: 256
    .name:           _ZN9rocsolver6v33100L23larf_right_kernel_smallILi256EflPfEEvT1_S3_T2_lS3_lPKT0_lS4_lS3_l
    .private_segment_fixed_size: 0
    .sgpr_count:     28
    .sgpr_spill_count: 0
    .symbol:         _ZN9rocsolver6v33100L23larf_right_kernel_smallILi256EflPfEEvT1_S3_T2_lS3_lPKT0_lS4_lS3_l.kd
    .uniform_work_group_size: 1
    .uses_dynamic_stack: false
    .vgpr_count:     23
    .vgpr_spill_count: 0
    .wavefront_size: 32
    .workgroup_processor_mode: 1
  - .args:
      - .offset:         0
        .size:           8
        .value_kind:     by_value
      - .offset:         8
        .size:           8
        .value_kind:     by_value
      - .address_space:  global
        .offset:         16
        .size:           8
        .value_kind:     global_buffer
      - .offset:         24
        .size:           8
        .value_kind:     by_value
      - .offset:         32
        .size:           8
        .value_kind:     by_value
      - .offset:         40
        .size:           8
        .value_kind:     by_value
      - .address_space:  global
        .offset:         48
        .size:           8
        .value_kind:     global_buffer
      - .offset:         56
        .size:           8
        .value_kind:     by_value
      - .address_space:  global
        .offset:         64
        .size:           8
        .value_kind:     global_buffer
      - .offset:         72
        .size:           8
        .value_kind:     by_value
      - .offset:         80
        .size:           8
        .value_kind:     by_value
      - .offset:         88
        .size:           8
        .value_kind:     by_value
    .group_segment_fixed_size: 8256
    .kernarg_segment_align: 8
    .kernarg_segment_size: 96
    .language:       OpenCL C
    .language_version:
      - 2
      - 0
    .max_flat_workgroup_size: 512
    .name:           _ZN9rocsolver6v33100L23larf_right_kernel_smallILi512EflPfEEvT1_S3_T2_lS3_lPKT0_lS4_lS3_l
    .private_segment_fixed_size: 0
    .sgpr_count:     28
    .sgpr_spill_count: 0
    .symbol:         _ZN9rocsolver6v33100L23larf_right_kernel_smallILi512EflPfEEvT1_S3_T2_lS3_lPKT0_lS4_lS3_l.kd
    .uniform_work_group_size: 1
    .uses_dynamic_stack: false
    .vgpr_count:     29
    .vgpr_spill_count: 0
    .wavefront_size: 32
    .workgroup_processor_mode: 1
  - .args:
      - .offset:         0
        .size:           8
        .value_kind:     by_value
      - .offset:         8
        .size:           8
        .value_kind:     by_value
      - .address_space:  global
        .offset:         16
        .size:           8
        .value_kind:     global_buffer
      - .offset:         24
        .size:           8
        .value_kind:     by_value
      - .offset:         32
        .size:           8
        .value_kind:     by_value
      - .offset:         40
        .size:           8
        .value_kind:     by_value
      - .address_space:  global
        .offset:         48
        .size:           8
        .value_kind:     global_buffer
      - .offset:         56
        .size:           8
        .value_kind:     by_value
      - .address_space:  global
        .offset:         64
        .size:           8
        .value_kind:     global_buffer
      - .offset:         72
        .size:           8
        .value_kind:     by_value
      - .offset:         80
        .size:           8
        .value_kind:     by_value
      - .offset:         88
        .size:           8
        .value_kind:     by_value
    .group_segment_fixed_size: 8320
    .kernarg_segment_align: 8
    .kernarg_segment_size: 96
    .language:       OpenCL C
    .language_version:
      - 2
      - 0
    .max_flat_workgroup_size: 1024
    .name:           _ZN9rocsolver6v33100L23larf_right_kernel_smallILi1024EflPfEEvT1_S3_T2_lS3_lPKT0_lS4_lS3_l
    .private_segment_fixed_size: 0
    .sgpr_count:     28
    .sgpr_spill_count: 0
    .symbol:         _ZN9rocsolver6v33100L23larf_right_kernel_smallILi1024EflPfEEvT1_S3_T2_lS3_lPKT0_lS4_lS3_l.kd
    .uniform_work_group_size: 1
    .uses_dynamic_stack: false
    .vgpr_count:     37
    .vgpr_spill_count: 0
    .wavefront_size: 32
    .workgroup_processor_mode: 1
  - .args:
      - .offset:         0
        .size:           8
        .value_kind:     by_value
      - .offset:         8
        .size:           8
        .value_kind:     by_value
      - .address_space:  global
        .offset:         16
        .size:           8
        .value_kind:     global_buffer
      - .offset:         24
        .size:           8
        .value_kind:     by_value
      - .offset:         32
        .size:           8
        .value_kind:     by_value
      - .offset:         40
        .size:           8
        .value_kind:     by_value
      - .address_space:  global
        .offset:         48
        .size:           8
        .value_kind:     global_buffer
      - .offset:         56
        .size:           8
        .value_kind:     by_value
      - .address_space:  global
        .offset:         64
        .size:           8
        .value_kind:     global_buffer
      - .offset:         72
        .size:           8
        .value_kind:     by_value
      - .offset:         80
        .size:           8
        .value_kind:     by_value
      - .offset:         88
        .size:           8
        .value_kind:     by_value
    .group_segment_fixed_size: 8448
    .kernarg_segment_align: 8
    .kernarg_segment_size: 96
    .language:       OpenCL C
    .language_version:
      - 2
      - 0
    .max_flat_workgroup_size: 64
    .name:           _ZN9rocsolver6v33100L22larf_left_kernel_smallILi64EflPKPfEEvT1_S5_T2_lS5_lPKT0_lS6_lS5_l
    .private_segment_fixed_size: 0
    .sgpr_count:     31
    .sgpr_spill_count: 0
    .symbol:         _ZN9rocsolver6v33100L22larf_left_kernel_smallILi64EflPKPfEEvT1_S5_T2_lS5_lPKT0_lS6_lS5_l.kd
    .uniform_work_group_size: 1
    .uses_dynamic_stack: false
    .vgpr_count:     17
    .vgpr_spill_count: 0
    .wavefront_size: 32
    .workgroup_processor_mode: 1
  - .args:
      - .offset:         0
        .size:           8
        .value_kind:     by_value
      - .offset:         8
        .size:           8
        .value_kind:     by_value
      - .address_space:  global
        .offset:         16
        .size:           8
        .value_kind:     global_buffer
      - .offset:         24
        .size:           8
        .value_kind:     by_value
      - .offset:         32
        .size:           8
        .value_kind:     by_value
      - .offset:         40
        .size:           8
        .value_kind:     by_value
      - .address_space:  global
        .offset:         48
        .size:           8
        .value_kind:     global_buffer
      - .offset:         56
        .size:           8
        .value_kind:     by_value
      - .address_space:  global
        .offset:         64
        .size:           8
        .value_kind:     global_buffer
      - .offset:         72
        .size:           8
        .value_kind:     by_value
      - .offset:         80
        .size:           8
        .value_kind:     by_value
      - .offset:         88
        .size:           8
        .value_kind:     by_value
    .group_segment_fixed_size: 8704
    .kernarg_segment_align: 8
    .kernarg_segment_size: 96
    .language:       OpenCL C
    .language_version:
      - 2
      - 0
    .max_flat_workgroup_size: 128
    .name:           _ZN9rocsolver6v33100L22larf_left_kernel_smallILi128EflPKPfEEvT1_S5_T2_lS5_lPKT0_lS6_lS5_l
    .private_segment_fixed_size: 0
    .sgpr_count:     31
    .sgpr_spill_count: 0
    .symbol:         _ZN9rocsolver6v33100L22larf_left_kernel_smallILi128EflPKPfEEvT1_S5_T2_lS5_lPKT0_lS6_lS5_l.kd
    .uniform_work_group_size: 1
    .uses_dynamic_stack: false
    .vgpr_count:     18
    .vgpr_spill_count: 0
    .wavefront_size: 32
    .workgroup_processor_mode: 1
  - .args:
      - .offset:         0
        .size:           8
        .value_kind:     by_value
      - .offset:         8
        .size:           8
        .value_kind:     by_value
      - .address_space:  global
        .offset:         16
        .size:           8
        .value_kind:     global_buffer
      - .offset:         24
        .size:           8
        .value_kind:     by_value
      - .offset:         32
        .size:           8
        .value_kind:     by_value
      - .offset:         40
        .size:           8
        .value_kind:     by_value
      - .address_space:  global
        .offset:         48
        .size:           8
        .value_kind:     global_buffer
      - .offset:         56
        .size:           8
        .value_kind:     by_value
      - .address_space:  global
        .offset:         64
        .size:           8
        .value_kind:     global_buffer
      - .offset:         72
        .size:           8
        .value_kind:     by_value
      - .offset:         80
        .size:           8
        .value_kind:     by_value
      - .offset:         88
        .size:           8
        .value_kind:     by_value
    .group_segment_fixed_size: 9216
    .kernarg_segment_align: 8
    .kernarg_segment_size: 96
    .language:       OpenCL C
    .language_version:
      - 2
      - 0
    .max_flat_workgroup_size: 256
    .name:           _ZN9rocsolver6v33100L22larf_left_kernel_smallILi256EflPKPfEEvT1_S5_T2_lS5_lPKT0_lS6_lS5_l
    .private_segment_fixed_size: 0
    .sgpr_count:     31
    .sgpr_spill_count: 0
    .symbol:         _ZN9rocsolver6v33100L22larf_left_kernel_smallILi256EflPKPfEEvT1_S5_T2_lS5_lPKT0_lS6_lS5_l.kd
    .uniform_work_group_size: 1
    .uses_dynamic_stack: false
    .vgpr_count:     22
    .vgpr_spill_count: 0
    .wavefront_size: 32
    .workgroup_processor_mode: 1
  - .args:
      - .offset:         0
        .size:           8
        .value_kind:     by_value
      - .offset:         8
        .size:           8
        .value_kind:     by_value
      - .address_space:  global
        .offset:         16
        .size:           8
        .value_kind:     global_buffer
      - .offset:         24
        .size:           8
        .value_kind:     by_value
      - .offset:         32
        .size:           8
        .value_kind:     by_value
      - .offset:         40
        .size:           8
        .value_kind:     by_value
      - .address_space:  global
        .offset:         48
        .size:           8
        .value_kind:     global_buffer
      - .offset:         56
        .size:           8
        .value_kind:     by_value
      - .address_space:  global
        .offset:         64
        .size:           8
        .value_kind:     global_buffer
      - .offset:         72
        .size:           8
        .value_kind:     by_value
      - .offset:         80
        .size:           8
        .value_kind:     by_value
      - .offset:         88
        .size:           8
        .value_kind:     by_value
    .group_segment_fixed_size: 10240
    .kernarg_segment_align: 8
    .kernarg_segment_size: 96
    .language:       OpenCL C
    .language_version:
      - 2
      - 0
    .max_flat_workgroup_size: 512
    .name:           _ZN9rocsolver6v33100L22larf_left_kernel_smallILi512EflPKPfEEvT1_S5_T2_lS5_lPKT0_lS6_lS5_l
    .private_segment_fixed_size: 0
    .sgpr_count:     31
    .sgpr_spill_count: 0
    .symbol:         _ZN9rocsolver6v33100L22larf_left_kernel_smallILi512EflPKPfEEvT1_S5_T2_lS5_lPKT0_lS6_lS5_l.kd
    .uniform_work_group_size: 1
    .uses_dynamic_stack: false
    .vgpr_count:     28
    .vgpr_spill_count: 0
    .wavefront_size: 32
    .workgroup_processor_mode: 1
  - .args:
      - .offset:         0
        .size:           8
        .value_kind:     by_value
      - .offset:         8
        .size:           8
        .value_kind:     by_value
      - .address_space:  global
        .offset:         16
        .size:           8
        .value_kind:     global_buffer
      - .offset:         24
        .size:           8
        .value_kind:     by_value
      - .offset:         32
        .size:           8
        .value_kind:     by_value
      - .offset:         40
        .size:           8
        .value_kind:     by_value
      - .address_space:  global
        .offset:         48
        .size:           8
        .value_kind:     global_buffer
      - .offset:         56
        .size:           8
        .value_kind:     by_value
      - .address_space:  global
        .offset:         64
        .size:           8
        .value_kind:     global_buffer
      - .offset:         72
        .size:           8
        .value_kind:     by_value
      - .offset:         80
        .size:           8
        .value_kind:     by_value
      - .offset:         88
        .size:           8
        .value_kind:     by_value
    .group_segment_fixed_size: 12288
    .kernarg_segment_align: 8
    .kernarg_segment_size: 96
    .language:       OpenCL C
    .language_version:
      - 2
      - 0
    .max_flat_workgroup_size: 1024
    .name:           _ZN9rocsolver6v33100L22larf_left_kernel_smallILi1024EflPKPfEEvT1_S5_T2_lS5_lPKT0_lS6_lS5_l
    .private_segment_fixed_size: 0
    .sgpr_count:     31
    .sgpr_spill_count: 0
    .symbol:         _ZN9rocsolver6v33100L22larf_left_kernel_smallILi1024EflPKPfEEvT1_S5_T2_lS5_lPKT0_lS6_lS5_l.kd
    .uniform_work_group_size: 1
    .uses_dynamic_stack: false
    .vgpr_count:     36
    .vgpr_spill_count: 0
    .wavefront_size: 32
    .workgroup_processor_mode: 1
  - .args:
      - .offset:         0
        .size:           8
        .value_kind:     by_value
      - .offset:         8
        .size:           8
        .value_kind:     by_value
      - .address_space:  global
        .offset:         16
        .size:           8
        .value_kind:     global_buffer
      - .offset:         24
        .size:           8
        .value_kind:     by_value
      - .offset:         32
        .size:           8
        .value_kind:     by_value
      - .offset:         40
        .size:           8
        .value_kind:     by_value
      - .address_space:  global
        .offset:         48
        .size:           8
        .value_kind:     global_buffer
      - .offset:         56
        .size:           8
        .value_kind:     by_value
      - .address_space:  global
        .offset:         64
        .size:           8
        .value_kind:     global_buffer
      - .offset:         72
        .size:           8
        .value_kind:     by_value
      - .offset:         80
        .size:           8
        .value_kind:     by_value
      - .offset:         88
        .size:           8
        .value_kind:     by_value
    .group_segment_fixed_size: 8200
    .kernarg_segment_align: 8
    .kernarg_segment_size: 96
    .language:       OpenCL C
    .language_version:
      - 2
      - 0
    .max_flat_workgroup_size: 64
    .name:           _ZN9rocsolver6v33100L23larf_right_kernel_smallILi64EflPKPfEEvT1_S5_T2_lS5_lPKT0_lS6_lS5_l
    .private_segment_fixed_size: 0
    .sgpr_count:     31
    .sgpr_spill_count: 0
    .symbol:         _ZN9rocsolver6v33100L23larf_right_kernel_smallILi64EflPKPfEEvT1_S5_T2_lS5_lPKT0_lS6_lS5_l.kd
    .uniform_work_group_size: 1
    .uses_dynamic_stack: false
    .vgpr_count:     18
    .vgpr_spill_count: 0
    .wavefront_size: 32
    .workgroup_processor_mode: 1
  - .args:
      - .offset:         0
        .size:           8
        .value_kind:     by_value
      - .offset:         8
        .size:           8
        .value_kind:     by_value
      - .address_space:  global
        .offset:         16
        .size:           8
        .value_kind:     global_buffer
      - .offset:         24
        .size:           8
        .value_kind:     by_value
      - .offset:         32
        .size:           8
        .value_kind:     by_value
      - .offset:         40
        .size:           8
        .value_kind:     by_value
      - .address_space:  global
        .offset:         48
        .size:           8
        .value_kind:     global_buffer
      - .offset:         56
        .size:           8
        .value_kind:     by_value
      - .address_space:  global
        .offset:         64
        .size:           8
        .value_kind:     global_buffer
      - .offset:         72
        .size:           8
        .value_kind:     by_value
      - .offset:         80
        .size:           8
        .value_kind:     by_value
      - .offset:         88
        .size:           8
        .value_kind:     by_value
    .group_segment_fixed_size: 8208
    .kernarg_segment_align: 8
    .kernarg_segment_size: 96
    .language:       OpenCL C
    .language_version:
      - 2
      - 0
    .max_flat_workgroup_size: 128
    .name:           _ZN9rocsolver6v33100L23larf_right_kernel_smallILi128EflPKPfEEvT1_S5_T2_lS5_lPKT0_lS6_lS5_l
    .private_segment_fixed_size: 0
    .sgpr_count:     31
    .sgpr_spill_count: 0
    .symbol:         _ZN9rocsolver6v33100L23larf_right_kernel_smallILi128EflPKPfEEvT1_S5_T2_lS5_lPKT0_lS6_lS5_l.kd
    .uniform_work_group_size: 1
    .uses_dynamic_stack: false
    .vgpr_count:     19
    .vgpr_spill_count: 0
    .wavefront_size: 32
    .workgroup_processor_mode: 1
  - .args:
      - .offset:         0
        .size:           8
        .value_kind:     by_value
      - .offset:         8
        .size:           8
        .value_kind:     by_value
      - .address_space:  global
        .offset:         16
        .size:           8
        .value_kind:     global_buffer
      - .offset:         24
        .size:           8
        .value_kind:     by_value
      - .offset:         32
        .size:           8
        .value_kind:     by_value
      - .offset:         40
        .size:           8
        .value_kind:     by_value
      - .address_space:  global
        .offset:         48
        .size:           8
        .value_kind:     global_buffer
      - .offset:         56
        .size:           8
        .value_kind:     by_value
      - .address_space:  global
        .offset:         64
        .size:           8
        .value_kind:     global_buffer
      - .offset:         72
        .size:           8
        .value_kind:     by_value
      - .offset:         80
        .size:           8
        .value_kind:     by_value
      - .offset:         88
        .size:           8
        .value_kind:     by_value
    .group_segment_fixed_size: 8224
    .kernarg_segment_align: 8
    .kernarg_segment_size: 96
    .language:       OpenCL C
    .language_version:
      - 2
      - 0
    .max_flat_workgroup_size: 256
    .name:           _ZN9rocsolver6v33100L23larf_right_kernel_smallILi256EflPKPfEEvT1_S5_T2_lS5_lPKT0_lS6_lS5_l
    .private_segment_fixed_size: 0
    .sgpr_count:     31
    .sgpr_spill_count: 0
    .symbol:         _ZN9rocsolver6v33100L23larf_right_kernel_smallILi256EflPKPfEEvT1_S5_T2_lS5_lPKT0_lS6_lS5_l.kd
    .uniform_work_group_size: 1
    .uses_dynamic_stack: false
    .vgpr_count:     23
    .vgpr_spill_count: 0
    .wavefront_size: 32
    .workgroup_processor_mode: 1
  - .args:
      - .offset:         0
        .size:           8
        .value_kind:     by_value
      - .offset:         8
        .size:           8
        .value_kind:     by_value
      - .address_space:  global
        .offset:         16
        .size:           8
        .value_kind:     global_buffer
      - .offset:         24
        .size:           8
        .value_kind:     by_value
      - .offset:         32
        .size:           8
        .value_kind:     by_value
      - .offset:         40
        .size:           8
        .value_kind:     by_value
      - .address_space:  global
        .offset:         48
        .size:           8
        .value_kind:     global_buffer
      - .offset:         56
        .size:           8
        .value_kind:     by_value
      - .address_space:  global
        .offset:         64
        .size:           8
        .value_kind:     global_buffer
      - .offset:         72
        .size:           8
        .value_kind:     by_value
      - .offset:         80
        .size:           8
        .value_kind:     by_value
      - .offset:         88
        .size:           8
        .value_kind:     by_value
    .group_segment_fixed_size: 8256
    .kernarg_segment_align: 8
    .kernarg_segment_size: 96
    .language:       OpenCL C
    .language_version:
      - 2
      - 0
    .max_flat_workgroup_size: 512
    .name:           _ZN9rocsolver6v33100L23larf_right_kernel_smallILi512EflPKPfEEvT1_S5_T2_lS5_lPKT0_lS6_lS5_l
    .private_segment_fixed_size: 0
    .sgpr_count:     31
    .sgpr_spill_count: 0
    .symbol:         _ZN9rocsolver6v33100L23larf_right_kernel_smallILi512EflPKPfEEvT1_S5_T2_lS5_lPKT0_lS6_lS5_l.kd
    .uniform_work_group_size: 1
    .uses_dynamic_stack: false
    .vgpr_count:     29
    .vgpr_spill_count: 0
    .wavefront_size: 32
    .workgroup_processor_mode: 1
  - .args:
      - .offset:         0
        .size:           8
        .value_kind:     by_value
      - .offset:         8
        .size:           8
        .value_kind:     by_value
      - .address_space:  global
        .offset:         16
        .size:           8
        .value_kind:     global_buffer
      - .offset:         24
        .size:           8
        .value_kind:     by_value
      - .offset:         32
        .size:           8
        .value_kind:     by_value
      - .offset:         40
        .size:           8
        .value_kind:     by_value
      - .address_space:  global
        .offset:         48
        .size:           8
        .value_kind:     global_buffer
      - .offset:         56
        .size:           8
        .value_kind:     by_value
      - .address_space:  global
        .offset:         64
        .size:           8
        .value_kind:     global_buffer
      - .offset:         72
        .size:           8
        .value_kind:     by_value
      - .offset:         80
        .size:           8
        .value_kind:     by_value
      - .offset:         88
        .size:           8
        .value_kind:     by_value
    .group_segment_fixed_size: 8320
    .kernarg_segment_align: 8
    .kernarg_segment_size: 96
    .language:       OpenCL C
    .language_version:
      - 2
      - 0
    .max_flat_workgroup_size: 1024
    .name:           _ZN9rocsolver6v33100L23larf_right_kernel_smallILi1024EflPKPfEEvT1_S5_T2_lS5_lPKT0_lS6_lS5_l
    .private_segment_fixed_size: 0
    .sgpr_count:     31
    .sgpr_spill_count: 0
    .symbol:         _ZN9rocsolver6v33100L23larf_right_kernel_smallILi1024EflPKPfEEvT1_S5_T2_lS5_lPKT0_lS6_lS5_l.kd
    .uniform_work_group_size: 1
    .uses_dynamic_stack: false
    .vgpr_count:     37
    .vgpr_spill_count: 0
    .wavefront_size: 32
    .workgroup_processor_mode: 1
amdhsa.target:   amdgcn-amd-amdhsa--gfx1201
amdhsa.version:
  - 1
  - 2
...

	.end_amdgpu_metadata
